;; amdgpu-corpus repo=ROCm/rocFFT kind=compiled arch=gfx906 opt=O3
	.text
	.amdgcn_target "amdgcn-amd-amdhsa--gfx906"
	.amdhsa_code_object_version 6
	.protected	bluestein_single_fwd_len918_dim1_sp_op_CI_CI ; -- Begin function bluestein_single_fwd_len918_dim1_sp_op_CI_CI
	.globl	bluestein_single_fwd_len918_dim1_sp_op_CI_CI
	.p2align	8
	.type	bluestein_single_fwd_len918_dim1_sp_op_CI_CI,@function
bluestein_single_fwd_len918_dim1_sp_op_CI_CI: ; @bluestein_single_fwd_len918_dim1_sp_op_CI_CI
; %bb.0:
	s_mov_b64 s[26:27], s[2:3]
	s_mov_b64 s[24:25], s[0:1]
	s_load_dwordx4 s[0:3], s[4:5], 0x28
	v_mul_u32_u24_e32 v1, 0x283, v0
	v_add_u32_sdwa v227, s6, v1 dst_sel:DWORD dst_unused:UNUSED_PAD src0_sel:DWORD src1_sel:WORD_1
	v_mov_b32_e32 v228, 0
	s_add_u32 s24, s24, s7
	s_waitcnt lgkmcnt(0)
	v_cmp_gt_u64_e32 vcc, s[0:1], v[227:228]
	s_addc_u32 s25, s25, 0
	s_and_saveexec_b64 s[0:1], vcc
	s_cbranch_execz .LBB0_23
; %bb.1:
	s_load_dwordx2 s[8:9], s[4:5], 0x0
	s_load_dwordx2 s[10:11], s[4:5], 0x38
	s_movk_i32 s0, 0x66
	v_mul_lo_u16_sdwa v1, v1, s0 dst_sel:DWORD dst_unused:UNUSED_PAD src0_sel:WORD_1 src1_sel:DWORD
	v_sub_u16_e32 v86, v0, v1
	v_cmp_gt_u16_e64 s[0:1], 54, v86
	v_lshlrev_b32_e32 v85, 3, v86
	s_and_saveexec_b64 s[6:7], s[0:1]
	s_cbranch_execz .LBB0_3
; %bb.2:
	s_load_dwordx2 s[12:13], s[4:5], 0x18
	s_waitcnt lgkmcnt(0)
	v_mov_b32_e32 v26, s9
	s_load_dwordx4 s[12:15], s[12:13], 0x0
	s_waitcnt lgkmcnt(0)
	v_mad_u64_u32 v[0:1], s[16:17], s14, v227, 0
	v_mad_u64_u32 v[2:3], s[16:17], s12, v86, 0
	;; [unrolled: 1-line block ×4, first 2 shown]
	v_mov_b32_e32 v1, v4
	v_lshlrev_b64 v[0:1], 3, v[0:1]
	v_mov_b32_e32 v3, v5
	v_mov_b32_e32 v6, s3
	v_lshlrev_b64 v[2:3], 3, v[2:3]
	v_add_co_u32_e32 v0, vcc, s2, v0
	v_addc_co_u32_e32 v1, vcc, v6, v1, vcc
	v_add_co_u32_e32 v0, vcc, v0, v2
	s_mul_i32 s2, s13, 0x1b0
	s_mul_hi_u32 s3, s12, 0x1b0
	v_addc_co_u32_e32 v1, vcc, v1, v3, vcc
	s_add_i32 s3, s3, s2
	s_mul_i32 s2, s12, 0x1b0
	v_mov_b32_e32 v3, s3
	v_add_co_u32_e32 v2, vcc, s2, v0
	v_addc_co_u32_e32 v3, vcc, v1, v3, vcc
	v_mov_b32_e32 v5, s3
	v_add_co_u32_e32 v4, vcc, s2, v2
	v_addc_co_u32_e32 v5, vcc, v3, v5, vcc
	;; [unrolled: 3-line block ×3, first 2 shown]
	v_add_co_u32_e32 v44, vcc, s8, v85
	v_addc_co_u32_e32 v45, vcc, 0, v26, vcc
	global_load_dwordx2 v[8:9], v85, s[8:9]
	global_load_dwordx2 v[10:11], v85, s[8:9] offset:432
	global_load_dwordx2 v[12:13], v85, s[8:9] offset:864
	;; [unrolled: 1-line block ×3, first 2 shown]
	global_load_dwordx2 v[16:17], v[0:1], off
	global_load_dwordx2 v[18:19], v[2:3], off
	global_load_dwordx2 v[20:21], v[4:5], off
	global_load_dwordx2 v[22:23], v[6:7], off
	v_mov_b32_e32 v26, s3
	v_add_co_u32_e32 v6, vcc, s2, v6
	v_addc_co_u32_e32 v7, vcc, v7, v26, vcc
	global_load_dwordx2 v[0:1], v85, s[8:9] offset:1728
	global_load_dwordx2 v[2:3], v85, s[8:9] offset:2160
	;; [unrolled: 1-line block ×4, first 2 shown]
	v_mov_b32_e32 v28, s3
	global_load_dwordx2 v[26:27], v[6:7], off
	v_add_co_u32_e32 v6, vcc, s2, v6
	v_addc_co_u32_e32 v7, vcc, v7, v28, vcc
	v_mov_b32_e32 v30, s3
	global_load_dwordx2 v[28:29], v[6:7], off
	v_add_co_u32_e32 v6, vcc, s2, v6
	v_addc_co_u32_e32 v7, vcc, v7, v30, vcc
	v_mov_b32_e32 v32, s3
	global_load_dwordx2 v[30:31], v[6:7], off
	v_add_co_u32_e32 v6, vcc, s2, v6
	v_addc_co_u32_e32 v7, vcc, v7, v32, vcc
	v_mov_b32_e32 v34, s3
	global_load_dwordx2 v[32:33], v[6:7], off
	v_add_co_u32_e32 v6, vcc, s2, v6
	v_addc_co_u32_e32 v7, vcc, v7, v34, vcc
	v_mov_b32_e32 v36, s3
	global_load_dwordx2 v[34:35], v[6:7], off
	v_add_co_u32_e32 v6, vcc, s2, v6
	v_addc_co_u32_e32 v7, vcc, v7, v36, vcc
	global_load_dwordx2 v[36:37], v[6:7], off
	global_load_dwordx2 v[38:39], v85, s[8:9] offset:3456
	global_load_dwordx2 v[40:41], v85, s[8:9] offset:3888
	v_mov_b32_e32 v42, s3
	v_add_co_u32_e32 v6, vcc, s2, v6
	v_addc_co_u32_e32 v7, vcc, v7, v42, vcc
	s_movk_i32 s12, 0x1000
	v_add_co_u32_e32 v44, vcc, s12, v44
	v_addc_co_u32_e32 v45, vcc, 0, v45, vcc
	global_load_dwordx2 v[42:43], v[6:7], off
	v_mov_b32_e32 v46, s3
	v_add_co_u32_e32 v6, vcc, s2, v6
	v_addc_co_u32_e32 v7, vcc, v7, v46, vcc
	global_load_dwordx2 v[46:47], v[6:7], off
	v_mov_b32_e32 v48, s3
	v_add_co_u32_e32 v6, vcc, s2, v6
	v_addc_co_u32_e32 v7, vcc, v7, v48, vcc
	global_load_dwordx2 v[48:49], v[6:7], off
	v_mov_b32_e32 v54, s3
	v_add_co_u32_e32 v6, vcc, s2, v6
	v_addc_co_u32_e32 v7, vcc, v7, v54, vcc
	global_load_dwordx2 v[50:51], v[44:45], off offset:224
	global_load_dwordx2 v[52:53], v[44:45], off offset:656
	global_load_dwordx2 v[54:55], v[6:7], off
	global_load_dwordx2 v[56:57], v[44:45], off offset:1088
	global_load_dwordx2 v[58:59], v[44:45], off offset:1520
	v_mov_b32_e32 v60, s3
	v_add_co_u32_e32 v6, vcc, s2, v6
	v_addc_co_u32_e32 v7, vcc, v7, v60, vcc
	global_load_dwordx2 v[60:61], v[6:7], off
	global_load_dwordx2 v[63:64], v[44:45], off offset:1952
	v_mov_b32_e32 v65, s3
	v_add_co_u32_e32 v6, vcc, s2, v6
	v_addc_co_u32_e32 v7, vcc, v7, v65, vcc
	v_mov_b32_e32 v69, s3
	global_load_dwordx2 v[65:66], v[6:7], off
	global_load_dwordx2 v[67:68], v[44:45], off offset:2384
	v_add_co_u32_e32 v6, vcc, s2, v6
	v_addc_co_u32_e32 v7, vcc, v7, v69, vcc
	global_load_dwordx2 v[69:70], v[6:7], off
	global_load_dwordx2 v[71:72], v[44:45], off offset:2816
	s_waitcnt vmcnt(29)
	v_mul_f32_e32 v6, v17, v9
	v_mul_f32_e32 v7, v16, v9
	v_fmac_f32_e32 v6, v16, v8
	v_fma_f32 v7, v17, v8, -v7
	s_waitcnt vmcnt(28)
	v_mul_f32_e32 v8, v19, v11
	v_mul_f32_e32 v9, v18, v11
	v_fmac_f32_e32 v8, v18, v10
	v_fma_f32 v9, v19, v10, -v9
	s_waitcnt vmcnt(27)
	v_mul_f32_e32 v10, v21, v13
	v_mul_f32_e32 v11, v20, v13
	ds_write2_b64 v85, v[6:7], v[8:9] offset1:54
	s_waitcnt vmcnt(26)
	v_mul_f32_e32 v6, v23, v15
	v_mul_f32_e32 v7, v22, v15
	v_fmac_f32_e32 v10, v20, v12
	v_fma_f32 v11, v21, v12, -v11
	v_fmac_f32_e32 v6, v22, v14
	v_fma_f32 v7, v23, v14, -v7
	ds_write2_b64 v85, v[10:11], v[6:7] offset0:108 offset1:162
	s_waitcnt vmcnt(21)
	v_mul_f32_e32 v6, v27, v1
	v_mul_f32_e32 v1, v26, v1
	v_fmac_f32_e32 v6, v26, v0
	v_fma_f32 v7, v27, v0, -v1
	s_waitcnt vmcnt(20)
	v_mul_f32_e32 v0, v29, v3
	v_mul_f32_e32 v1, v28, v3
	v_fmac_f32_e32 v0, v28, v2
	v_fma_f32 v1, v29, v2, -v1
	v_add_u32_e32 v2, 0x400, v85
	ds_write2_b64 v2, v[6:7], v[0:1] offset0:88 offset1:142
	s_waitcnt vmcnt(19)
	v_mul_f32_e32 v0, v31, v5
	v_mul_f32_e32 v1, v30, v5
	s_waitcnt vmcnt(18)
	v_mul_f32_e32 v2, v33, v25
	v_mul_f32_e32 v3, v32, v25
	v_fmac_f32_e32 v0, v30, v4
	v_fma_f32 v1, v31, v4, -v1
	v_fmac_f32_e32 v2, v32, v24
	v_fma_f32 v3, v33, v24, -v3
	v_add_u32_e32 v4, 0x800, v85
	ds_write2_b64 v4, v[0:1], v[2:3] offset0:68 offset1:122
	s_waitcnt vmcnt(15)
	v_mul_f32_e32 v0, v35, v39
	v_mul_f32_e32 v1, v34, v39
	s_waitcnt vmcnt(14)
	v_mul_f32_e32 v2, v37, v41
	v_mul_f32_e32 v3, v36, v41
	v_fmac_f32_e32 v0, v34, v38
	v_fma_f32 v1, v35, v38, -v1
	v_fmac_f32_e32 v2, v36, v40
	v_fma_f32 v3, v37, v40, -v3
	ds_write2_b64 v4, v[0:1], v[2:3] offset0:176 offset1:230
	v_add_u32_e32 v4, 0x1000, v85
	s_waitcnt vmcnt(10)
	v_mul_f32_e32 v0, v43, v51
	v_mul_f32_e32 v1, v42, v51
	s_waitcnt vmcnt(9)
	v_mul_f32_e32 v2, v47, v53
	v_mul_f32_e32 v3, v46, v53
	v_fmac_f32_e32 v0, v42, v50
	v_fma_f32 v1, v43, v50, -v1
	v_fmac_f32_e32 v2, v46, v52
	v_fma_f32 v3, v47, v52, -v3
	ds_write2_b64 v4, v[0:1], v[2:3] offset0:28 offset1:82
	s_waitcnt vmcnt(7)
	v_mul_f32_e32 v0, v49, v57
	v_mul_f32_e32 v1, v48, v57
	s_waitcnt vmcnt(6)
	v_mul_f32_e32 v2, v55, v59
	v_mul_f32_e32 v3, v54, v59
	v_fmac_f32_e32 v0, v48, v56
	v_fma_f32 v1, v49, v56, -v1
	v_fmac_f32_e32 v2, v54, v58
	v_fma_f32 v3, v55, v58, -v3
	ds_write2_b64 v4, v[0:1], v[2:3] offset0:136 offset1:190
	s_waitcnt vmcnt(4)
	v_mul_f32_e32 v0, v61, v64
	v_mul_f32_e32 v1, v60, v64
	s_waitcnt vmcnt(2)
	v_mul_f32_e32 v2, v66, v68
	v_mul_f32_e32 v3, v65, v68
	v_fmac_f32_e32 v0, v60, v63
	v_fma_f32 v1, v61, v63, -v1
	v_fmac_f32_e32 v2, v65, v67
	v_fma_f32 v3, v66, v67, -v3
	v_add_u32_e32 v4, 0x1400, v85
	ds_write2_b64 v4, v[0:1], v[2:3] offset0:116 offset1:170
	s_waitcnt vmcnt(0)
	v_mul_f32_e32 v0, v70, v72
	v_mul_f32_e32 v1, v69, v72
	v_fmac_f32_e32 v0, v69, v71
	v_fma_f32 v1, v70, v71, -v1
	ds_write_b64 v85, v[0:1] offset:6912
.LBB0_3:
	s_or_b64 exec, exec, s[6:7]
	s_load_dwordx2 s[2:3], s[4:5], 0x20
	s_load_dwordx2 s[12:13], s[4:5], 0x8
	v_mov_b32_e32 v12, 0
	v_mov_b32_e32 v13, 0
	s_waitcnt lgkmcnt(0)
	s_barrier
	s_waitcnt lgkmcnt(0)
                                        ; implicit-def: $vgpr18
                                        ; implicit-def: $vgpr20
                                        ; implicit-def: $vgpr36
                                        ; implicit-def: $vgpr40
                                        ; implicit-def: $vgpr44
                                        ; implicit-def: $vgpr34
                                        ; implicit-def: $vgpr30
                                        ; implicit-def: $vgpr26
	s_and_saveexec_b64 s[4:5], s[0:1]
	s_cbranch_execz .LBB0_5
; %bb.4:
	v_add_u32_e32 v0, 0x400, v85
	ds_read2_b64 v[12:15], v85 offset1:54
	ds_read2_b64 v[24:27], v85 offset0:108 offset1:162
	ds_read2_b64 v[28:31], v0 offset0:88 offset1:142
	v_add_u32_e32 v0, 0x800, v85
	ds_read2_b64 v[32:35], v0 offset0:68 offset1:122
	ds_read2_b64 v[16:19], v0 offset0:176 offset1:230
	v_add_u32_e32 v0, 0x1000, v85
	;; [unrolled: 3-line block ×3, first 2 shown]
	ds_read2_b64 v[40:43], v0 offset0:116 offset1:170
	ds_read_b64 v[44:45], v85 offset:6912
.LBB0_5:
	s_or_b64 exec, exec, s[4:5]
	s_waitcnt lgkmcnt(0)
	v_sub_f32_e32 v47, v15, v45
	v_mul_f32_e32 v48, 0xbeb8f4ab, v47
	v_sub_f32_e32 v98, v25, v43
	v_add_f32_e32 v65, v44, v14
	v_sub_f32_e32 v46, v14, v44
	v_mov_b32_e32 v0, v48
	v_mul_f32_e32 v49, 0xbf2c7751, v98
	v_add_f32_e32 v66, v45, v15
	s_mov_b32 s7, 0x3f6eb680
	v_mul_f32_e32 v50, 0xbeb8f4ab, v46
	v_fmac_f32_e32 v0, 0x3f6eb680, v65
	v_add_f32_e32 v69, v42, v24
	v_sub_f32_e32 v87, v24, v42
	v_mov_b32_e32 v2, v49
	v_add_f32_e32 v0, v0, v12
	v_fma_f32 v1, v66, s7, -v50
	s_mov_b32 s6, 0x3f3d2fb0
	v_add_f32_e32 v70, v43, v25
	v_mul_f32_e32 v51, 0xbf2c7751, v87
	v_fmac_f32_e32 v2, 0x3f3d2fb0, v69
	v_sub_f32_e32 v110, v27, v41
	v_add_f32_e32 v1, v1, v13
	v_add_f32_e32 v0, v2, v0
	v_fma_f32 v2, v70, s6, -v51
	v_mul_f32_e32 v52, 0xbf65296c, v110
	v_add_f32_e32 v1, v2, v1
	v_add_f32_e32 v81, v40, v26
	v_sub_f32_e32 v109, v26, v40
	v_mov_b32_e32 v2, v52
	s_mov_b32 s5, 0x3ee437d1
	v_add_f32_e32 v82, v41, v27
	v_mul_f32_e32 v53, 0xbf65296c, v109
	v_fmac_f32_e32 v2, 0x3ee437d1, v81
	v_sub_f32_e32 v123, v29, v39
	v_add_f32_e32 v0, v2, v0
	v_fma_f32 v2, v82, s5, -v53
	v_mul_f32_e32 v54, 0xbf7ee86f, v123
	v_add_f32_e32 v1, v2, v1
	v_add_f32_e32 v95, v38, v28
	v_mov_b32_e32 v2, v54
	v_sub_f32_e32 v124, v28, v38
	s_mov_b32 s4, 0x3dbcf732
	v_add_f32_e32 v96, v39, v29
	v_fmac_f32_e32 v2, 0x3dbcf732, v95
	v_mul_f32_e32 v55, 0xbf7ee86f, v124
	v_sub_f32_e32 v139, v31, v37
	v_add_f32_e32 v0, v2, v0
	v_fma_f32 v2, v96, s4, -v55
	v_mul_f32_e32 v56, 0xbf763a35, v139
	v_add_f32_e32 v1, v2, v1
	v_add_f32_e32 v83, v36, v30
	v_mov_b32_e32 v2, v56
	v_sub_f32_e32 v140, v30, v36
	v_fmac_f32_e32 v2, 0xbe8c1d8e, v83
	s_mov_b32 s14, 0xbe8c1d8e
	v_add_f32_e32 v90, v37, v31
	v_mul_f32_e32 v57, 0xbf763a35, v140
	v_sub_f32_e32 v149, v33, v23
	v_add_f32_e32 v0, v2, v0
	v_fma_f32 v2, v90, s14, -v57
	v_mul_f32_e32 v58, 0xbf4c4adb, v149
	v_add_f32_e32 v1, v2, v1
	v_add_f32_e32 v94, v22, v32
	v_mov_b32_e32 v2, v58
	v_sub_f32_e32 v150, v32, v22
	v_fmac_f32_e32 v2, 0xbf1a4643, v94
	s_mov_b32 s15, 0xbf1a4643
	v_add_f32_e32 v97, v23, v33
	;; [unrolled: 12-line block ×3, first 2 shown]
	v_mul_f32_e32 v61, 0xbf06c442, v198
	v_sub_f32_e32 v199, v17, v19
	v_add_f32_e32 v0, v2, v0
	v_fma_f32 v2, v108, s16, -v61
	v_mul_f32_e32 v67, 0xbe3c28d5, v199
	v_add_f32_e32 v1, v2, v1
	v_add_f32_e32 v111, v18, v16
	v_mov_b32_e32 v2, v67
	v_sub_f32_e32 v200, v16, v18
	s_mov_b32 s17, 0xbf7ba420
	v_fmac_f32_e32 v2, 0xbf7ba420, v111
	v_add_f32_e32 v120, v19, v17
	v_mul_f32_e32 v68, 0xbe3c28d5, v200
	v_add_f32_e32 v63, v2, v0
	v_fma_f32 v0, v120, s17, -v68
	v_mul_f32_e32 v71, 0xbf2c7751, v47
	v_add_f32_e32 v64, v0, v1
	v_mov_b32_e32 v0, v71
	v_mul_f32_e32 v72, 0xbf7ee86f, v98
	v_fmac_f32_e32 v0, 0x3f3d2fb0, v65
	v_mov_b32_e32 v1, v72
	v_add_f32_e32 v0, v0, v12
	v_fmac_f32_e32 v1, 0x3dbcf732, v69
	v_mul_f32_e32 v76, 0xbf2c7751, v46
	v_add_f32_e32 v0, v1, v0
	v_fma_f32 v1, v66, s6, -v76
	v_mul_f32_e32 v77, 0xbf7ee86f, v87
	v_add_f32_e32 v1, v1, v13
	v_fma_f32 v2, v70, s4, -v77
	v_mul_f32_e32 v73, 0xbf4c4adb, v110
	v_add_f32_e32 v1, v2, v1
	v_mov_b32_e32 v2, v73
	v_fmac_f32_e32 v2, 0xbf1a4643, v81
	v_mul_f32_e32 v79, 0xbf4c4adb, v109
	v_add_f32_e32 v0, v2, v0
	v_fma_f32 v2, v82, s15, -v79
	v_mul_f32_e32 v74, 0xbe3c28d5, v123
	v_add_f32_e32 v1, v2, v1
	v_mov_b32_e32 v2, v74
	v_fmac_f32_e32 v2, 0xbf7ba420, v95
	;; [unrolled: 7-line block ×6, first 2 shown]
	v_mul_f32_e32 v93, 0x3eb8f4ab, v200
	v_mul_f32_e32 v99, 0xbf65296c, v47
	v_fma_f32 v3, v120, s7, -v93
	v_add_f32_e32 v2, v2, v0
	v_mov_b32_e32 v0, v99
	v_mul_f32_e32 v100, 0xbf4c4adb, v98
	v_add_f32_e32 v3, v3, v1
	v_fmac_f32_e32 v0, 0x3ee437d1, v65
	v_mov_b32_e32 v1, v100
	v_add_f32_e32 v0, v0, v12
	v_fmac_f32_e32 v1, 0xbf1a4643, v69
	v_mul_f32_e32 v101, 0x3e3c28d5, v110
	v_add_f32_e32 v0, v1, v0
	v_mov_b32_e32 v1, v101
	v_fmac_f32_e32 v1, 0xbf7ba420, v81
	v_mul_f32_e32 v102, 0x3f763a35, v123
	v_add_f32_e32 v0, v1, v0
	v_mov_b32_e32 v1, v102
	;; [unrolled: 4-line block ×6, first 2 shown]
	v_fmac_f32_e32 v1, 0xbf59a7d5, v111
	v_mul_f32_e32 v112, 0xbf65296c, v46
	v_add_f32_e32 v0, v1, v0
	v_fma_f32 v1, v66, s5, -v112
	v_mul_f32_e32 v113, 0xbf4c4adb, v87
	v_add_f32_e32 v1, v1, v13
	v_fma_f32 v4, v70, s15, -v113
	;; [unrolled: 3-line block ×8, first 2 shown]
	v_mul_f32_e32 v121, 0xbf7ee86f, v47
	v_add_f32_e32 v1, v4, v1
	v_mov_b32_e32 v4, v121
	v_mul_f32_e32 v122, 0xbe3c28d5, v98
	v_fmac_f32_e32 v4, 0x3dbcf732, v65
	v_mov_b32_e32 v5, v122
	v_add_f32_e32 v4, v4, v12
	v_fmac_f32_e32 v5, 0xbf7ba420, v69
	v_mul_f32_e32 v128, 0xbf7ee86f, v46
	v_add_f32_e32 v4, v5, v4
	v_fma_f32 v5, v66, s4, -v128
	v_mul_f32_e32 v129, 0xbe3c28d5, v87
	v_add_f32_e32 v5, v5, v13
	v_fma_f32 v6, v70, s17, -v129
	v_mul_f32_e32 v125, 0x3f763a35, v110
	v_add_f32_e32 v5, v6, v5
	v_mov_b32_e32 v6, v125
	v_fmac_f32_e32 v6, 0xbe8c1d8e, v81
	v_mul_f32_e32 v131, 0x3f763a35, v109
	v_add_f32_e32 v4, v6, v4
	v_fma_f32 v6, v82, s14, -v131
	v_mul_f32_e32 v126, 0x3eb8f4ab, v123
	v_add_f32_e32 v5, v6, v5
	v_mov_b32_e32 v6, v126
	v_fmac_f32_e32 v6, 0x3f6eb680, v95
	;; [unrolled: 7-line block ×6, first 2 shown]
	v_mul_f32_e32 v138, 0x3f2c7751, v200
	v_mul_f32_e32 v141, 0xbf763a35, v47
	v_fma_f32 v7, v120, s6, -v138
	v_add_f32_e32 v6, v6, v4
	v_mov_b32_e32 v4, v141
	v_mul_f32_e32 v142, 0x3f06c442, v98
	v_add_f32_e32 v7, v7, v5
	v_fmac_f32_e32 v4, 0xbe8c1d8e, v65
	v_mov_b32_e32 v5, v142
	v_add_f32_e32 v4, v4, v12
	v_fmac_f32_e32 v5, 0xbf59a7d5, v69
	v_mul_f32_e32 v143, 0x3f2c7751, v110
	v_add_f32_e32 v4, v5, v4
	v_mov_b32_e32 v5, v143
	v_fmac_f32_e32 v5, 0x3f3d2fb0, v81
	v_mul_f32_e32 v144, 0xbf65296c, v123
	v_add_f32_e32 v4, v5, v4
	v_mov_b32_e32 v5, v144
	;; [unrolled: 4-line block ×6, first 2 shown]
	v_fmac_f32_e32 v5, 0xbf1a4643, v111
	v_mul_f32_e32 v151, 0xbf763a35, v46
	v_add_f32_e32 v4, v5, v4
	v_fma_f32 v5, v66, s14, -v151
	v_mul_f32_e32 v152, 0x3f06c442, v87
	v_add_f32_e32 v5, v5, v13
	v_fma_f32 v8, v70, s16, -v152
	;; [unrolled: 3-line block ×8, first 2 shown]
	v_mul_f32_e32 v159, 0xbf4c4adb, v47
	v_add_f32_e32 v5, v8, v5
	v_mov_b32_e32 v8, v159
	v_mul_f32_e32 v160, 0x3f763a35, v98
	v_fmac_f32_e32 v8, 0xbf1a4643, v65
	v_mov_b32_e32 v9, v160
	v_add_f32_e32 v8, v8, v12
	v_fmac_f32_e32 v9, 0xbe8c1d8e, v69
	v_mul_f32_e32 v164, 0xbf4c4adb, v46
	v_add_f32_e32 v8, v9, v8
	v_fma_f32 v9, v66, s15, -v164
	v_mul_f32_e32 v165, 0x3f763a35, v87
	v_add_f32_e32 v9, v9, v13
	v_fma_f32 v10, v70, s14, -v165
	v_mul_f32_e32 v161, 0xbeb8f4ab, v110
	v_add_f32_e32 v9, v10, v9
	v_mov_b32_e32 v10, v161
	v_fmac_f32_e32 v10, 0x3f6eb680, v81
	v_mul_f32_e32 v167, 0xbeb8f4ab, v109
	v_add_f32_e32 v8, v10, v8
	v_fma_f32 v10, v82, s7, -v167
	v_mul_f32_e32 v162, 0xbf06c442, v123
	v_add_f32_e32 v9, v10, v9
	v_mov_b32_e32 v10, v162
	v_fmac_f32_e32 v10, 0xbf59a7d5, v95
	;; [unrolled: 7-line block ×6, first 2 shown]
	v_mul_f32_e32 v174, 0x3f65296c, v200
	v_mul_f32_e32 v177, 0xbf06c442, v47
	v_fma_f32 v11, v120, s5, -v174
	v_add_f32_e32 v10, v10, v8
	v_mov_b32_e32 v8, v177
	v_mul_f32_e32 v182, 0x3f65296c, v98
	v_add_f32_e32 v11, v11, v9
	v_fmac_f32_e32 v8, 0xbf59a7d5, v65
	v_mov_b32_e32 v9, v182
	v_add_f32_e32 v8, v8, v12
	v_fmac_f32_e32 v9, 0x3ee437d1, v69
	v_mul_f32_e32 v178, 0xbf7ee86f, v110
	v_add_f32_e32 v8, v9, v8
	v_mov_b32_e32 v9, v178
	v_fmac_f32_e32 v9, 0x3dbcf732, v81
	v_mul_f32_e32 v179, 0x3f4c4adb, v123
	v_add_f32_e32 v8, v9, v8
	v_mov_b32_e32 v9, v179
	;; [unrolled: 4-line block ×6, first 2 shown]
	v_fmac_f32_e32 v9, 0xbe8c1d8e, v111
	v_mul_f32_e32 v190, 0xbf06c442, v46
	v_add_f32_e32 v8, v9, v8
	v_fma_f32 v9, v66, s16, -v190
	v_mul_f32_e32 v189, 0x3f65296c, v87
	v_add_f32_e32 v9, v9, v13
	v_fma_f32 v183, v70, s5, -v189
	;; [unrolled: 3-line block ×7, first 2 shown]
	v_add_f32_e32 v9, v183, v9
	v_mul_f32_e32 v183, 0xbf763a35, v200
	v_fma_f32 v191, v120, s14, -v183
	v_add_f32_e32 v9, v191, v9
	v_mul_f32_e32 v191, 0xbe3c28d5, v47
	v_mov_b32_e32 v47, v191
	v_mul_f32_e32 v98, 0x3eb8f4ab, v98
	v_fmac_f32_e32 v47, 0xbf7ba420, v65
	v_mov_b32_e32 v192, v98
	v_add_f32_e32 v47, v47, v12
	v_fmac_f32_e32 v192, 0x3f6eb680, v69
	v_add_f32_e32 v47, v192, v47
	v_mul_f32_e32 v192, 0xbe3c28d5, v46
	v_fma_f32 v46, v66, s17, -v192
	v_mul_f32_e32 v193, 0x3eb8f4ab, v87
	v_add_f32_e32 v46, v46, v13
	v_fma_f32 v87, v70, s7, -v193
	v_mul_f32_e32 v110, 0xbf06c442, v110
	v_add_f32_e32 v46, v87, v46
	v_mov_b32_e32 v87, v110
	v_fmac_f32_e32 v87, 0xbf59a7d5, v81
	v_mul_f32_e32 v194, 0xbf06c442, v109
	v_add_f32_e32 v47, v87, v47
	v_fma_f32 v87, v82, s16, -v194
	v_mul_f32_e32 v109, 0x3f2c7751, v123
	v_add_f32_e32 v46, v87, v46
	v_mov_b32_e32 v87, v109
	v_fmac_f32_e32 v87, 0x3f3d2fb0, v95
	;; [unrolled: 7-line block ×5, first 2 shown]
	v_mul_f32_e32 v150, 0xbf763a35, v198
	v_add_f32_e32 v47, v87, v47
	v_fma_f32 v87, v108, s14, -v150
	v_mul_f32_e32 v140, 0x3f7ee86f, v199
	v_add_f32_e32 v87, v87, v46
	v_mov_b32_e32 v46, v140
	v_mul_f32_e32 v197, 0x3f7ee86f, v200
	v_fmac_f32_e32 v46, 0x3dbcf732, v111
	v_add_f32_e32 v46, v46, v47
	v_fma_f32 v47, v120, s4, -v197
	v_add_f32_e32 v47, v47, v87
	v_mul_lo_u16_e32 v226, 17, v86
	s_barrier
	s_and_saveexec_b64 s[4:5], s[0:1]
	s_cbranch_execz .LBB0_7
; %bb.6:
	v_mul_f32_e32 v212, 0x3f6eb680, v66
	v_mul_f32_e32 v201, 0x3f3d2fb0, v66
	;; [unrolled: 1-line block ×16, first 2 shown]
	v_add_f32_e32 v66, v192, v66
	v_mul_f32_e32 v228, 0x3ee437d1, v82
	v_mul_f32_e32 v229, 0xbf1a4643, v82
	v_mul_f32_e32 v231, 0xbf7ba420, v82
	v_mul_f32_e32 v233, 0xbe8c1d8e, v82
	v_mul_f32_e32 v235, 0x3f3d2fb0, v82
	v_mul_f32_e32 v237, 0x3f6eb680, v82
	v_mul_f32_e32 v239, 0x3dbcf732, v82
	v_mul_f32_e32 v82, 0xbf59a7d5, v82
	v_add_f32_e32 v70, v193, v70
	v_add_f32_e32 v66, v66, v13
	v_mul_f32_e32 v241, 0x3dbcf732, v96
	v_mul_f32_e32 v243, 0xbf7ba420, v96
	v_mul_f32_e32 v245, 0xbe8c1d8e, v96
	v_mul_f32_e32 v247, 0x3f6eb680, v96
	v_mul_f32_e32 v249, 0x3ee437d1, v96
	v_mul_f32_e32 v251, 0xbf59a7d5, v96
	v_mul_f32_e32 v253, 0xbf1a4643, v96
	v_mul_f32_e32 v96, 0x3f3d2fb0, v96
	v_add_f32_e32 v66, v70, v66
	;; [unrolled: 10-line block ×3, first 2 shown]
	v_add_f32_e32 v70, v195, v96
	buffer_store_dword v62, off, s[24:27], 0 ; 4-byte Folded Spill
	v_mul_f32_e32 v62, 0x3f3d2fb0, v69
	v_mul_f32_e32 v214, 0x3dbcf732, v69
	;; [unrolled: 1-line block ×8, first 2 shown]
	v_add_f32_e32 v66, v70, v66
	v_mul_f32_e32 v70, 0xbf1a4643, v90
	v_sub_f32_e32 v65, v65, v191
	v_mul_f32_e32 v199, 0x3ee437d1, v81
	v_mov_b32_e32 v198, v54
	v_mov_b32_e32 v54, v52
	;; [unrolled: 1-line block ×3, first 2 shown]
	v_mul_f32_e32 v49, 0xbf1a4643, v81
	v_mul_f32_e32 v230, 0xbf7ba420, v81
	;; [unrolled: 1-line block ×7, first 2 shown]
	v_add_f32_e32 v70, v196, v70
	v_sub_f32_e32 v69, v69, v98
	v_add_f32_e32 v65, v65, v12
	v_mul_f32_e32 v240, 0x3dbcf732, v95
	v_mul_f32_e32 v242, 0xbf7ba420, v95
	;; [unrolled: 1-line block ×8, first 2 shown]
	v_add_f32_e32 v66, v70, v66
	v_mul_f32_e32 v70, 0x3ee437d1, v97
	v_add_f32_e32 v65, v69, v65
	v_sub_f32_e32 v69, v81, v110
	v_mul_f32_e32 v254, 0xbe8c1d8e, v83
	v_mul_f32_e32 v193, 0xbf59a7d5, v83
	;; [unrolled: 1-line block ×4, first 2 shown]
	v_add_f32_e32 v70, v149, v70
	v_mul_f32_e32 v149, 0xbf7ba420, v83
	v_mul_f32_e32 v196, 0x3dbcf732, v83
	;; [unrolled: 1-line block ×4, first 2 shown]
	v_add_f32_e32 v65, v69, v65
	v_sub_f32_e32 v69, v95, v109
	v_add_f32_e32 v65, v69, v65
	v_sub_f32_e32 v69, v83, v123
	v_add_f32_e32 v65, v69, v65
	v_mul_f32_e32 v69, 0x3ee437d1, v94
	v_sub_f32_e32 v69, v69, v124
	v_add_f32_e32 v65, v69, v65
	v_mul_f32_e32 v69, 0xbe8c1d8e, v104
	v_add_f32_e32 v66, v70, v66
	v_mul_f32_e32 v70, 0xbe8c1d8e, v108
	v_sub_f32_e32 v69, v69, v139
	v_add_f32_e32 v70, v150, v70
	v_add_f32_e32 v65, v69, v65
	v_mul_f32_e32 v69, 0x3dbcf732, v111
	v_add_f32_e32 v66, v70, v66
	v_mul_f32_e32 v70, 0x3dbcf732, v120
	v_sub_f32_e32 v69, v69, v140
	v_add_f32_e32 v70, v197, v70
	v_add_f32_e32 v65, v69, v65
	;; [unrolled: 1-line block ×3, first 2 shown]
	buffer_store_dword v62, off, s[24:27], 0 offset:4 ; 4-byte Folded Spill
	v_mul_f32_e32 v191, 0xbf1a4643, v94
	v_mul_f32_e32 v110, 0xbf1a4643, v97
	;; [unrolled: 1-line block ×4, first 2 shown]
	v_mov_b32_e32 v62, v48
	v_mul_f32_e32 v48, 0x3f6eb680, v94
	v_mul_f32_e32 v83, 0x3f6eb680, v97
	;; [unrolled: 1-line block ×5, first 2 shown]
	v_add_f32_e32 v66, v70, v66
	v_mul_f32_e32 v95, 0x3dbcf732, v97
	v_mul_f32_e32 v81, 0x3f3d2fb0, v94
	;; [unrolled: 1-line block ×5, first 2 shown]
	v_add_f32_e32 v97, v189, v225
	v_add_f32_e32 v69, v69, v13
	;; [unrolled: 1-line block ×4, first 2 shown]
	v_mul_f32_e32 v192, 0xbe8c1d8e, v90
	v_mul_f32_e32 v255, 0xbf59a7d5, v90
	;; [unrolled: 1-line block ×7, first 2 shown]
	v_add_f32_e32 v69, v97, v69
	v_add_f32_e32 v97, v187, v253
	;; [unrolled: 1-line block ×4, first 2 shown]
	v_sub_f32_e32 v177, v210, v177
	v_add_f32_e32 v69, v90, v69
	v_add_f32_e32 v94, v185, v94
	v_sub_f32_e32 v182, v224, v182
	v_add_f32_e32 v177, v177, v12
	v_add_f32_e32 v69, v94, v69
	v_mul_f32_e32 v94, 0x3f3d2fb0, v108
	v_add_f32_e32 v177, v182, v177
	v_sub_f32_e32 v178, v238, v178
	v_add_f32_e32 v94, v184, v94
	v_add_f32_e32 v177, v178, v177
	v_sub_f32_e32 v179, v252, v179
	v_add_f32_e32 v69, v94, v69
	v_mul_f32_e32 v94, 0xbe8c1d8e, v120
	v_add_f32_e32 v177, v179, v177
	v_sub_f32_e32 v98, v98, v180
	v_mul_f32_e32 v189, 0xbf59a7d5, v104
	v_mul_f32_e32 v188, 0x3ee437d1, v104
	;; [unrolled: 1-line block ×5, first 2 shown]
	v_add_f32_e32 v94, v183, v94
	v_mul_f32_e32 v183, 0xbf7ba420, v104
	v_mul_f32_e32 v104, 0x3f3d2fb0, v104
	v_add_f32_e32 v98, v98, v177
	v_sub_f32_e32 v70, v70, v181
	v_mul_f32_e32 v185, 0xbf7ba420, v111
	v_mul_f32_e32 v182, 0x3f6eb680, v111
	;; [unrolled: 1-line block ×5, first 2 shown]
	v_add_f32_e32 v98, v70, v98
	v_mul_f32_e32 v239, 0x3ee437d1, v111
	v_mul_f32_e32 v111, 0xbe8c1d8e, v111
	v_add_f32_e32 v70, v94, v69
	v_sub_f32_e32 v69, v104, v175
	v_add_f32_e32 v69, v69, v98
	v_sub_f32_e32 v94, v111, v176
	v_add_f32_e32 v69, v94, v69
	v_add_f32_e32 v94, v164, v209
	v_add_f32_e32 v94, v94, v13
	v_add_f32_e32 v98, v165, v223
	v_add_f32_e32 v94, v98, v94
	v_add_f32_e32 v98, v167, v237
	v_add_f32_e32 v94, v98, v94
	v_add_f32_e32 v98, v169, v251
	v_add_f32_e32 v94, v98, v94
	v_add_f32_e32 v82, v171, v82
	v_mul_f32_e32 v190, 0xbf59a7d5, v108
	v_mul_f32_e32 v211, 0x3ee437d1, v108
	;; [unrolled: 1-line block ×6, first 2 shown]
	v_add_f32_e32 v82, v82, v94
	v_add_f32_e32 v94, v172, v140
	v_mul_f32_e32 v210, 0xbf7ba420, v120
	v_mul_f32_e32 v224, 0x3f6eb680, v120
	;; [unrolled: 1-line block ×6, first 2 shown]
	v_add_f32_e32 v82, v94, v82
	v_add_f32_e32 v94, v173, v108
	v_add_f32_e32 v82, v94, v82
	v_add_f32_e32 v94, v174, v120
	v_add_f32_e32 v82, v94, v82
	v_sub_f32_e32 v94, v208, v159
	v_add_f32_e32 v94, v94, v12
	v_sub_f32_e32 v98, v222, v160
	v_add_f32_e32 v94, v98, v94
	v_sub_f32_e32 v98, v236, v161
	v_add_f32_e32 v94, v98, v94
	v_sub_f32_e32 v98, v250, v162
	v_add_f32_e32 v94, v98, v94
	v_sub_f32_e32 v98, v196, v163
	v_add_f32_e32 v94, v98, v94
	v_sub_f32_e32 v81, v81, v166
	v_add_f32_e32 v81, v81, v94
	v_sub_f32_e32 v94, v183, v168
	v_add_f32_e32 v81, v94, v81
	v_sub_f32_e32 v94, v239, v170
	v_add_f32_e32 v81, v94, v81
	v_add_f32_e32 v94, v151, v207
	v_add_f32_e32 v94, v94, v13
	v_add_f32_e32 v98, v152, v221
	v_add_f32_e32 v94, v98, v94
	v_add_f32_e32 v98, v153, v235
	v_add_f32_e32 v94, v98, v94
	v_add_f32_e32 v98, v154, v249
	v_add_f32_e32 v94, v98, v94
	v_add_f32_e32 v98, v155, v150
	v_add_f32_e32 v94, v98, v94
	v_add_f32_e32 v95, v156, v95
	v_add_f32_e32 v94, v95, v94
	v_add_f32_e32 v95, v157, v184
	v_add_f32_e32 v94, v95, v94
	v_add_f32_e32 v95, v158, v181
	v_add_f32_e32 v95, v95, v94
	v_sub_f32_e32 v94, v206, v141
	v_add_f32_e32 v94, v94, v12
	v_sub_f32_e32 v98, v220, v142
	v_add_f32_e32 v94, v98, v94
	v_sub_f32_e32 v98, v234, v143
	v_add_f32_e32 v94, v98, v94
	v_sub_f32_e32 v98, v248, v144
	v_add_f32_e32 v94, v98, v94
	v_sub_f32_e32 v98, v149, v145
	v_add_f32_e32 v94, v98, v94
	v_sub_f32_e32 v98, v139, v146
	v_add_f32_e32 v94, v98, v94
	v_sub_f32_e32 v97, v97, v147
	v_add_f32_e32 v94, v97, v94
	v_sub_f32_e32 v97, v177, v148
	v_add_f32_e32 v94, v97, v94
	v_add_f32_e32 v97, v128, v205
	v_add_f32_e32 v97, v97, v13
	v_add_f32_e32 v98, v129, v219
	v_add_f32_e32 v97, v98, v97
	v_add_f32_e32 v98, v131, v233
	v_add_f32_e32 v97, v98, v97
	v_add_f32_e32 v98, v133, v247
	v_add_f32_e32 v97, v98, v97
	v_add_f32_e32 v98, v135, v195
	v_add_f32_e32 v97, v98, v97
	v_add_f32_e32 v98, v136, v124
	v_add_f32_e32 v97, v98, v97
	v_add_f32_e32 v90, v137, v90
	v_add_f32_e32 v90, v90, v97
	v_add_f32_e32 v97, v138, v180
	v_add_f32_e32 v97, v97, v90
	v_sub_f32_e32 v90, v204, v121
	v_add_f32_e32 v90, v90, v12
	v_sub_f32_e32 v98, v218, v122
	v_add_f32_e32 v90, v98, v90
	v_sub_f32_e32 v98, v232, v125
	v_add_f32_e32 v90, v98, v90
	v_sub_f32_e32 v98, v246, v126
	v_add_f32_e32 v90, v98, v90
	v_sub_f32_e32 v96, v96, v127
	v_add_f32_e32 v90, v96, v90
	v_sub_f32_e32 v96, v123, v130
	v_add_f32_e32 v90, v96, v90
	v_sub_f32_e32 v96, v186, v132
	v_add_f32_e32 v90, v96, v90
	v_sub_f32_e32 v96, v179, v134
	v_add_f32_e32 v96, v96, v90
	v_add_f32_e32 v90, v112, v203
	v_add_f32_e32 v90, v90, v13
	v_add_f32_e32 v98, v113, v217
	v_add_f32_e32 v90, v98, v90
	v_add_f32_e32 v98, v114, v231
	v_add_f32_e32 v90, v98, v90
	v_add_f32_e32 v98, v115, v245
	v_add_f32_e32 v90, v98, v90
	v_add_f32_e32 v87, v116, v87
	v_add_f32_e32 v87, v87, v90
	v_add_f32_e32 v83, v117, v83
	v_add_f32_e32 v83, v83, v87
	v_add_f32_e32 v87, v118, v225
	v_add_f32_e32 v83, v87, v83
	v_add_f32_e32 v87, v119, v238
	v_add_f32_e32 v104, v87, v83
	v_sub_f32_e32 v83, v202, v99
	v_add_f32_e32 v83, v83, v12
	v_sub_f32_e32 v87, v216, v100
	v_add_f32_e32 v83, v87, v83
	v_sub_f32_e32 v87, v230, v101
	v_add_f32_e32 v83, v87, v83
	v_sub_f32_e32 v87, v244, v102
	v_add_f32_e32 v83, v87, v83
	v_sub_f32_e32 v87, v194, v103
	v_add_f32_e32 v83, v87, v83
	v_sub_f32_e32 v48, v48, v105
	v_add_f32_e32 v48, v48, v83
	v_sub_f32_e32 v83, v187, v106
	v_add_f32_e32 v48, v83, v48
	v_sub_f32_e32 v83, v178, v107
	v_add_f32_e32 v103, v83, v48
	v_add_f32_e32 v48, v76, v201
	v_add_f32_e32 v48, v48, v13
	v_add_f32_e32 v76, v77, v215
	v_add_f32_e32 v48, v76, v48
	v_add_f32_e32 v76, v79, v229
	v_add_f32_e32 v48, v76, v48
	v_add_f32_e32 v76, v84, v243
	v_add_f32_e32 v48, v76, v48
	v_add_f32_e32 v76, v89, v255
	v_add_f32_e32 v48, v76, v48
	v_add_f32_e32 v76, v91, v109
	v_add_f32_e32 v48, v76, v48
	v_add_f32_e32 v76, v92, v211
	v_add_f32_e32 v48, v76, v48
	v_add_f32_e32 v76, v93, v224
	v_add_f32_e32 v76, v76, v48
	v_sub_f32_e32 v48, v200, v71
	v_add_f32_e32 v48, v48, v12
	v_sub_f32_e32 v71, v214, v72
	v_add_f32_e32 v48, v71, v48
	v_sub_f32_e32 v71, v49, v73
	v_add_f32_e32 v48, v71, v48
	v_sub_f32_e32 v71, v242, v74
	v_add_f32_e32 v48, v71, v48
	v_sub_f32_e32 v71, v193, v75
	v_add_f32_e32 v48, v71, v48
	v_sub_f32_e32 v71, v197, v78
	v_add_f32_e32 v48, v71, v48
	v_sub_f32_e32 v71, v188, v80
	v_add_f32_e32 v48, v71, v48
	v_sub_f32_e32 v71, v182, v88
	v_add_f32_e32 v75, v71, v48
	v_add_f32_e32 v48, v50, v212
	v_add_f32_e32 v48, v48, v13
	v_add_f32_e32 v49, v51, v213
	v_add_f32_e32 v48, v49, v48
	v_add_f32_e32 v49, v53, v228
	v_add_f32_e32 v48, v49, v48
	v_add_f32_e32 v49, v55, v241
	v_add_f32_e32 v48, v49, v48
	v_add_f32_e32 v49, v57, v192
	v_add_f32_e32 v48, v49, v48
	v_add_f32_e32 v49, v59, v110
	v_add_f32_e32 v48, v49, v48
	v_add_f32_e32 v49, v61, v190
	v_add_f32_e32 v48, v49, v48
	v_add_f32_e32 v49, v68, v210
	v_add_f32_e32 v49, v49, v48
	buffer_load_dword v48, off, s[24:27], 0 ; 4-byte Folded Reload
	buffer_load_dword v50, off, s[24:27], 0 offset:4 ; 4-byte Folded Reload
	v_add_f32_e32 v13, v15, v13
	v_add_f32_e32 v13, v25, v13
	;; [unrolled: 1-line block ×16, first 2 shown]
	s_waitcnt vmcnt(1)
	v_sub_f32_e32 v48, v48, v62
	v_add_f32_e32 v48, v48, v12
	v_add_f32_e32 v12, v14, v12
	;; [unrolled: 1-line block ×9, first 2 shown]
	s_waitcnt vmcnt(0)
	v_sub_f32_e32 v50, v50, v52
	v_add_f32_e32 v12, v18, v12
	v_add_f32_e32 v48, v50, v48
	v_sub_f32_e32 v50, v199, v54
	v_add_f32_e32 v12, v20, v12
	v_add_f32_e32 v48, v50, v48
	v_sub_f32_e32 v50, v240, v198
	v_add_f32_e32 v12, v22, v12
	v_add_f32_e32 v48, v50, v48
	v_sub_f32_e32 v50, v254, v56
	v_add_f32_e32 v12, v36, v12
	v_add_f32_e32 v48, v50, v48
	v_sub_f32_e32 v50, v191, v58
	v_add_f32_e32 v12, v38, v12
	v_add_f32_e32 v48, v50, v48
	v_sub_f32_e32 v50, v189, v60
	v_add_f32_e32 v12, v40, v12
	v_add_f32_e32 v48, v50, v48
	v_sub_f32_e32 v50, v185, v67
	v_add_f32_e32 v12, v42, v12
	v_add_f32_e32 v48, v50, v48
	v_add_f32_e32 v12, v44, v12
	v_lshlrev_b32_e32 v14, 3, v226
	ds_write2_b64 v14, v[12:13], v[48:49] offset1:1
	ds_write2_b64 v14, v[75:76], v[103:104] offset0:2 offset1:3
	ds_write2_b64 v14, v[96:97], v[94:95] offset0:4 offset1:5
	;; [unrolled: 1-line block ×7, first 2 shown]
	ds_write_b64 v14, v[63:64] offset:128
.LBB0_7:
	s_or_b64 exec, exec, s[4:5]
	s_load_dwordx4 s[4:7], s[2:3], 0x0
	s_movk_i32 s2, 0xf1
	v_mul_lo_u16_sdwa v12, v86, s2 dst_sel:DWORD dst_unused:UNUSED_PAD src0_sel:BYTE_0 src1_sel:DWORD
	v_lshrrev_b16_e32 v49, 12, v12
	v_mul_lo_u16_e32 v12, 17, v49
	v_sub_u16_e32 v12, v86, v12
	v_and_b32_e32 v50, 0xff, v12
	v_lshlrev_b32_e32 v28, 6, v50
	s_waitcnt lgkmcnt(0)
	s_barrier
	global_load_dwordx4 v[24:27], v28, s[12:13]
	global_load_dwordx4 v[20:23], v28, s[12:13] offset:16
	global_load_dwordx4 v[16:19], v28, s[12:13] offset:32
	;; [unrolled: 1-line block ×3, first 2 shown]
	ds_read2_b64 v[28:31], v85 offset1:102
	v_add_u32_e32 v51, 0x400, v85
	ds_read_b64 v[44:45], v85 offset:6528
	v_add_u32_e32 v48, 0x800, v85
	v_add_u32_e32 v52, 0x1000, v85
	ds_read2_b64 v[32:35], v51 offset0:76 offset1:178
	ds_read2_b64 v[36:39], v48 offset0:152 offset1:254
	;; [unrolled: 1-line block ×3, first 2 shown]
	s_waitcnt lgkmcnt(4)
	v_mov_b32_e32 v53, v28
	v_mov_b32_e32 v54, v29
	s_mov_b32 s2, 0xbf248dbb
	v_mul_u32_u24_e32 v49, 0x99, v49
	v_add_lshl_u32 v88, v49, v50, 3
	s_waitcnt vmcnt(0) lgkmcnt(0)
	s_barrier
	v_mul_f32_e32 v55, v31, v25
	v_mul_f32_e32 v56, v30, v25
	v_mul_f32_e32 v60, v34, v21
	v_mul_f32_e32 v72, v45, v15
	v_mul_f32_e32 v73, v44, v15
	v_mul_f32_e32 v57, v33, v27
	v_mul_f32_e32 v58, v32, v27
	v_mul_f32_e32 v59, v35, v21
	v_mul_f32_e32 v61, v37, v23
	v_mul_f32_e32 v65, v36, v23
	v_mul_f32_e32 v66, v39, v17
	v_mul_f32_e32 v67, v38, v17
	v_mul_f32_e32 v68, v41, v19
	v_mul_f32_e32 v69, v40, v19
	v_mul_f32_e32 v70, v43, v13
	v_mul_f32_e32 v71, v42, v13
	v_fma_f32 v30, v30, v24, -v55
	v_fmac_f32_e32 v56, v31, v24
	v_fmac_f32_e32 v60, v35, v20
	v_fma_f32 v35, v44, v14, -v72
	v_fmac_f32_e32 v73, v45, v14
	v_fma_f32 v31, v32, v26, -v57
	;; [unrolled: 2-line block ×3, first 2 shown]
	v_fma_f32 v55, v36, v22, -v61
	v_fmac_f32_e32 v65, v37, v22
	v_fma_f32 v57, v38, v16, -v66
	v_fmac_f32_e32 v67, v39, v16
	;; [unrolled: 2-line block ×4, first 2 shown]
	v_add_f32_e32 v42, v30, v35
	v_add_f32_e32 v43, v56, v73
	v_sub_f32_e32 v40, v30, v35
	v_sub_f32_e32 v41, v56, v73
	v_add_f32_e32 v59, v31, v34
	v_add_f32_e32 v61, v58, v71
	;; [unrolled: 1-line block ×4, first 2 shown]
	v_sub_f32_e32 v56, v31, v34
	v_sub_f32_e32 v58, v58, v71
	;; [unrolled: 1-line block ×6, first 2 shown]
	v_mul_f32_e32 v32, 0x3f248dbb, v40
	v_mul_f32_e32 v33, 0x3f248dbb, v41
	v_fmac_f32_e32 v53, 0x3f441b7d, v42
	v_fmac_f32_e32 v54, 0x3f441b7d, v43
	v_add_f32_e32 v72, v55, v57
	v_add_f32_e32 v73, v65, v67
	v_fmac_f32_e32 v32, 0x3f7c1c5c, v56
	v_fmac_f32_e32 v33, 0x3f7c1c5c, v58
	;; [unrolled: 1-line block ×4, first 2 shown]
	v_add_f32_e32 v36, v69, v40
	v_add_f32_e32 v37, v71, v41
	v_add_f32_e32 v74, v59, v42
	v_add_f32_e32 v75, v61, v43
	v_fmac_f32_e32 v32, 0x3f5db3d7, v70
	v_fmac_f32_e32 v33, 0x3f5db3d7, v60
	v_fmac_f32_e32 v53, -0.5, v66
	v_fmac_f32_e32 v54, -0.5, v68
	v_sub_f32_e32 v38, v36, v56
	v_sub_f32_e32 v39, v37, v58
	v_add_f32_e32 v36, v66, v28
	v_add_f32_e32 v37, v68, v29
	;; [unrolled: 1-line block ×4, first 2 shown]
	v_fmac_f32_e32 v32, 0x3eaf1d44, v69
	v_fmac_f32_e32 v33, 0x3eaf1d44, v71
	;; [unrolled: 1-line block ×4, first 2 shown]
	v_fmac_f32_e32 v36, -0.5, v76
	v_fmac_f32_e32 v37, -0.5, v77
	v_add_f32_e32 v30, v33, v53
	v_sub_f32_e32 v31, v54, v32
	v_mul_f32_e32 v53, 0x3f5db3d7, v38
	v_mul_f32_e32 v54, 0x3f5db3d7, v39
	v_fmac_f32_e32 v36, 0x3f5db3d7, v39
	v_fmac_f32_e32 v37, 0xbf5db3d7, v38
	v_fma_f32 v38, -2.0, v54, v36
	v_fma_f32 v39, 2.0, v53, v37
	v_mul_f32_e32 v53, 0x3f7c1c5c, v69
	v_mul_f32_e32 v54, 0x3f7c1c5c, v71
	v_fma_f32 v53, v56, s2, -v53
	v_fma_f32 v54, v58, s2, -v54
	v_mul_f32_e32 v35, 0xbf248dbb, v69
	v_mul_f32_e32 v34, 0xbf248dbb, v71
	v_fmac_f32_e32 v53, 0x3f5db3d7, v70
	v_fmac_f32_e32 v54, 0x3f5db3d7, v60
	;; [unrolled: 1-line block ×6, first 2 shown]
	v_add_f32_e32 v40, v66, v74
	v_add_f32_e32 v41, v68, v75
	;; [unrolled: 1-line block ×4, first 2 shown]
	v_fma_f32 v44, -2.0, v33, v30
	v_fma_f32 v45, 2.0, v32, v31
	v_mov_b32_e32 v32, v28
	v_mov_b32_e32 v33, v29
	v_add_f32_e32 v40, v57, v40
	v_add_f32_e32 v41, v67, v41
	v_fmac_f32_e32 v32, 0x3f441b7d, v72
	v_fmac_f32_e32 v33, 0x3f441b7d, v73
	v_add_f32_e32 v40, v40, v28
	v_add_f32_e32 v41, v41, v29
	v_fmac_f32_e32 v28, 0x3f441b7d, v59
	v_fmac_f32_e32 v29, 0x3f441b7d, v61
	;; [unrolled: 1-line block ×8, first 2 shown]
	v_fmac_f32_e32 v32, -0.5, v66
	v_fmac_f32_e32 v33, -0.5, v68
	;; [unrolled: 1-line block ×4, first 2 shown]
	v_fmac_f32_e32 v35, 0x3eaf1d44, v56
	v_fmac_f32_e32 v34, 0x3eaf1d44, v58
	v_fmac_f32_e32 v32, 0xbf708fb2, v59
	v_fmac_f32_e32 v33, 0xbf708fb2, v61
	v_fmac_f32_e32 v28, 0xbf708fb2, v42
	v_fmac_f32_e32 v29, 0xbf708fb2, v43
	v_add_f32_e32 v32, v34, v32
	v_sub_f32_e32 v33, v33, v35
	v_add_f32_e32 v28, v54, v28
	v_sub_f32_e32 v29, v29, v53
	v_fma_f32 v34, -2.0, v34, v32
	v_fma_f32 v35, 2.0, v35, v33
	v_fma_f32 v42, -2.0, v54, v28
	v_fma_f32 v43, 2.0, v53, v29
	ds_write2_b64 v88, v[40:41], v[30:31] offset1:17
	ds_write2_b64 v88, v[32:33], v[36:37] offset0:34 offset1:51
	ds_write2_b64 v88, v[28:29], v[42:43] offset0:68 offset1:85
	;; [unrolled: 1-line block ×3, first 2 shown]
	ds_write_b64 v88, v[44:45] offset:1088
	v_add_u32_e32 v32, 0xc00, v85
	s_waitcnt lgkmcnt(0)
	s_barrier
	ds_read2_b64 v[28:31], v85 offset1:102
	ds_read2_b64 v[36:39], v32 offset0:75 offset1:177
	ds_read2_b64 v[32:35], v51 offset0:76 offset1:178
	;; [unrolled: 1-line block ×3, first 2 shown]
	v_cmp_gt_u16_e64 s[2:3], 51, v86
	s_and_saveexec_b64 s[14:15], s[2:3]
	s_cbranch_execz .LBB0_9
; %bb.8:
	ds_read_b64 v[44:45], v85 offset:3264
	ds_read_b64 v[46:47], v85 offset:6936
.LBB0_9:
	s_or_b64 exec, exec, s[14:15]
	v_add_co_u32_e32 v49, vcc, 0x66, v86
	v_addc_co_u32_e64 v50, s[14:15], 0, 0, vcc
	s_movk_i32 s14, 0xffcd
	v_add_co_u32_e32 v51, vcc, s14, v86
	v_addc_co_u32_e64 v52, s[14:15], 0, -1, vcc
	v_cndmask_b32_e64 v53, v52, v50, s[2:3]
	v_cndmask_b32_e64 v52, v51, v49, s[2:3]
	v_lshlrev_b64 v[50:51], 3, v[52:53]
	v_mov_b32_e32 v56, s13
	v_add_co_u32_e32 v50, vcc, s12, v50
	v_add_u32_e32 v54, 0x132, v86
	v_addc_co_u32_e32 v51, vcc, v56, v51, vcc
	s_movk_i32 s14, 0x358b
	global_load_dwordx2 v[67:68], v85, s[12:13] offset:1088
	global_load_dwordx2 v[69:70], v85, s[12:13] offset:1496
	global_load_dwordx2 v[71:72], v[50:51], off offset:1088
	v_mul_u32_u24_sdwa v50, v54, s14 dst_sel:DWORD dst_unused:UNUSED_PAD src0_sel:WORD_0 src1_sel:DWORD
	v_lshrrev_b32_e32 v50, 21, v50
	v_mul_lo_u16_e32 v50, 0x99, v50
	v_add_u32_e32 v55, 0x198, v86
	v_sub_u16_e32 v50, v54, v50
	v_lshlrev_b32_e32 v90, 3, v50
	v_mul_u32_u24_sdwa v50, v55, s14 dst_sel:DWORD dst_unused:UNUSED_PAD src0_sel:WORD_0 src1_sel:DWORD
	v_lshrrev_b32_e32 v50, 21, v50
	v_mul_lo_u16_e32 v50, 0x99, v50
	v_sub_u16_e32 v50, v55, v50
	v_lshlrev_b32_e32 v89, 3, v50
	global_load_dwordx2 v[65:66], v89, s[12:13] offset:1088
	global_load_dwordx2 v[73:74], v90, s[12:13] offset:1088
	v_add_co_u32_e32 v50, vcc, s12, v85
	v_addc_co_u32_e32 v51, vcc, 0, v56, vcc
	v_mov_b32_e32 v53, 0x132
	v_cmp_lt_u16_e32 vcc, 50, v86
	v_cndmask_b32_e32 v53, 0, v53, vcc
	v_add_lshl_u32 v91, v52, v53, 3
	s_waitcnt vmcnt(0) lgkmcnt(0)
	s_barrier
	v_add_u32_e32 v52, 0x1000, v90
	v_mul_f32_e32 v53, v37, v68
	v_mul_f32_e32 v54, v36, v68
	v_fma_f32 v36, v36, v67, -v53
	v_fmac_f32_e32 v54, v37, v67
	v_sub_f32_e32 v36, v28, v36
	v_sub_f32_e32 v37, v29, v54
	v_fma_f32 v28, v28, 2.0, -v36
	v_fma_f32 v29, v29, 2.0, -v37
	ds_write2_b64 v85, v[28:29], v[36:37] offset1:153
	v_mul_f32_e32 v28, v39, v72
	v_mul_f32_e32 v29, v38, v72
	;; [unrolled: 1-line block ×8, first 2 shown]
	v_fma_f32 v28, v38, v71, -v28
	v_fmac_f32_e32 v29, v39, v71
	v_fma_f32 v40, v40, v69, -v55
	v_fmac_f32_e32 v56, v41, v69
	v_fma_f32 v36, v42, v73, -v36
	v_fmac_f32_e32 v37, v43, v73
	v_fma_f32 v38, v46, v65, -v53
	v_fmac_f32_e32 v54, v47, v65
	v_sub_f32_e32 v28, v30, v28
	v_sub_f32_e32 v29, v31, v29
	;; [unrolled: 1-line block ×8, first 2 shown]
	v_fma_f32 v30, v30, 2.0, -v28
	v_fma_f32 v31, v31, 2.0, -v29
	;; [unrolled: 1-line block ×6, first 2 shown]
	ds_write2_b64 v91, v[30:31], v[28:29] offset1:153
	ds_write2_b64 v48, v[32:33], v[40:41] offset0:101 offset1:254
	ds_write2_b64 v52, v[34:35], v[36:37] offset0:100 offset1:253
	s_and_saveexec_b64 s[14:15], s[2:3]
	s_cbranch_execz .LBB0_11
; %bb.10:
	v_fma_f32 v29, v45, 2.0, -v47
	v_fma_f32 v28, v44, 2.0, -v46
	v_add_u32_e32 v30, 0x1000, v89
	ds_write2_b64 v30, v[28:29], v[46:47] offset0:100 offset1:253
.LBB0_11:
	s_or_b64 exec, exec, s[14:15]
	v_add_co_u32_e32 v28, vcc, v50, v85
	v_addc_co_u32_e32 v29, vcc, 0, v51, vcc
	v_lshlrev_b32_e32 v32, 4, v49
	v_mov_b32_e32 v36, 0xcc0
	s_waitcnt lgkmcnt(0)
	s_barrier
	global_load_dwordx4 v[28:31], v[28:29], off offset:2312
	v_lshl_add_u32 v36, v86, 4, v36
	global_load_dwordx4 v[32:35], v32, s[12:13] offset:2312
	v_add_u32_e32 v75, 0x400, v85
	global_load_dwordx4 v[36:39], v36, s[12:13] offset:2312
	v_add_u32_e32 v44, 0x1000, v85
	ds_read2_b64 v[48:51], v85 offset1:102
	ds_read2_b64 v[52:55], v75 offset0:76 offset1:178
	v_add_u32_e32 v45, 0x800, v85
	ds_read2_b64 v[40:43], v44 offset0:100 offset1:202
	ds_read_b64 v[60:61], v85 offset:6528
	ds_read2_b64 v[56:59], v45 offset0:152 offset1:254
	s_waitcnt vmcnt(2) lgkmcnt(3)
	v_mul_f32_e32 v76, v55, v29
	v_mul_f32_e32 v77, v54, v29
	s_waitcnt lgkmcnt(2)
	v_mul_f32_e32 v78, v41, v31
	v_mul_f32_e32 v79, v40, v31
	s_waitcnt vmcnt(1) lgkmcnt(0)
	v_mul_f32_e32 v80, v57, v33
	v_mul_f32_e32 v81, v56, v33
	;; [unrolled: 1-line block ×4, first 2 shown]
	v_fma_f32 v54, v54, v28, -v76
	v_fmac_f32_e32 v77, v55, v28
	v_fma_f32 v40, v40, v30, -v78
	v_fmac_f32_e32 v79, v41, v30
	;; [unrolled: 2-line block ×4, first 2 shown]
	s_waitcnt vmcnt(0)
	v_mul_f32_e32 v43, v59, v37
	v_mul_f32_e32 v76, v58, v37
	v_mul_f32_e32 v55, v61, v39
	v_mul_f32_e32 v78, v60, v39
	v_fma_f32 v80, v58, v36, -v43
	v_fmac_f32_e32 v76, v59, v36
	v_fma_f32 v82, v60, v38, -v55
	v_fmac_f32_e32 v78, v61, v38
	v_add_f32_e32 v55, v54, v40
	v_sub_f32_e32 v60, v77, v79
	v_add_f32_e32 v56, v49, v77
	v_add_f32_e32 v57, v77, v79
	v_add_f32_e32 v59, v41, v42
	v_sub_f32_e32 v77, v81, v83
	v_add_f32_e32 v84, v51, v81
	v_add_f32_e32 v81, v81, v83
	;; [unrolled: 1-line block ×3, first 2 shown]
	v_sub_f32_e32 v61, v54, v40
	v_add_f32_e32 v58, v50, v41
	v_sub_f32_e32 v87, v41, v42
	v_fma_f32 v54, -0.5, v55, v48
	v_add_f32_e32 v41, v56, v79
	v_fma_f32 v55, -0.5, v57, v49
	v_fma_f32 v50, -0.5, v59, v50
	v_fmac_f32_e32 v51, -0.5, v81
	v_add_f32_e32 v59, v80, v82
	v_sub_f32_e32 v79, v76, v78
	v_add_f32_e32 v81, v53, v76
	v_add_f32_e32 v76, v76, v78
	;; [unrolled: 1-line block ×5, first 2 shown]
	v_mov_b32_e32 v42, v54
	v_mov_b32_e32 v43, v55
	v_fma_f32 v52, -0.5, v59, v52
	v_fmac_f32_e32 v53, -0.5, v76
	v_fmac_f32_e32 v54, 0xbf5db3d7, v60
	v_fmac_f32_e32 v55, 0x3f5db3d7, v61
	v_mov_b32_e32 v48, v50
	v_mov_b32_e32 v49, v51
	v_fmac_f32_e32 v42, 0x3f5db3d7, v60
	v_fmac_f32_e32 v43, 0xbf5db3d7, v61
	v_mov_b32_e32 v60, v52
	v_sub_f32_e32 v76, v80, v82
	v_mov_b32_e32 v61, v53
	v_add_f32_e32 v57, v84, v83
	v_fmac_f32_e32 v50, 0xbf5db3d7, v77
	v_fmac_f32_e32 v51, 0x3f5db3d7, v87
	v_add_f32_e32 v58, v58, v82
	v_add_f32_e32 v59, v81, v78
	v_fmac_f32_e32 v48, 0x3f5db3d7, v77
	v_fmac_f32_e32 v49, 0xbf5db3d7, v87
	;; [unrolled: 1-line block ×6, first 2 shown]
	ds_write2_b64 v85, v[40:41], v[56:57] offset1:102
	ds_write2_b64 v44, v[54:55], v[50:51] offset0:100 offset1:202
	ds_write2_b64 v75, v[58:59], v[42:43] offset0:76 offset1:178
	;; [unrolled: 1-line block ×3, first 2 shown]
	ds_write_b64 v85, v[52:53] offset:6528
	s_waitcnt lgkmcnt(0)
	s_barrier
	s_and_saveexec_b64 s[12:13], s[0:1]
	s_cbranch_execz .LBB0_13
; %bb.12:
	v_mov_b32_e32 v75, s9
	v_add_co_u32_e32 v81, vcc, s8, v85
	v_addc_co_u32_e32 v82, vcc, 0, v75, vcc
	v_add_co_u32_e32 v75, vcc, 0x1cb0, v81
	v_addc_co_u32_e32 v76, vcc, 0, v82, vcc
	;; [unrolled: 2-line block ×3, first 2 shown]
	global_load_dwordx2 v[79:80], v[77:78], off offset:3248
	global_load_dwordx2 v[83:84], v[75:76], off offset:432
	;; [unrolled: 1-line block ×9, first 2 shown]
	s_movk_i32 s14, 0x2000
	v_add_co_u32_e32 v77, vcc, s14, v81
	v_addc_co_u32_e32 v78, vcc, 0, v82, vcc
	global_load_dwordx2 v[118:119], v[77:78], off offset:3472
	global_load_dwordx2 v[120:121], v[77:78], off offset:3904
	;; [unrolled: 1-line block ×3, first 2 shown]
	s_movk_i32 s14, 0x3000
	v_add_co_u32_e32 v75, vcc, s14, v81
	v_addc_co_u32_e32 v76, vcc, 0, v82, vcc
	global_load_dwordx2 v[124:125], v[75:76], off offset:240
	global_load_dwordx2 v[126:127], v[75:76], off offset:672
	;; [unrolled: 1-line block ×5, first 2 shown]
	ds_read_b64 v[77:78], v85
	v_add_u32_e32 v87, 0xc00, v85
	s_waitcnt vmcnt(16) lgkmcnt(0)
	v_mul_f32_e32 v75, v78, v80
	v_mul_f32_e32 v76, v77, v80
	v_fma_f32 v75, v77, v79, -v75
	v_fmac_f32_e32 v76, v78, v79
	ds_write_b64 v85, v[75:76]
	ds_read2_b64 v[75:78], v85 offset0:54 offset1:108
	ds_read2_b64 v[79:82], v85 offset0:162 offset1:216
	;; [unrolled: 1-line block ×5, first 2 shown]
	s_waitcnt vmcnt(15) lgkmcnt(4)
	v_mul_f32_e32 v134, v76, v84
	v_mul_f32_e32 v135, v75, v84
	s_waitcnt vmcnt(14)
	v_mul_f32_e32 v136, v78, v105
	v_mul_f32_e32 v84, v77, v105
	s_waitcnt vmcnt(13) lgkmcnt(3)
	v_mul_f32_e32 v137, v80, v107
	v_mul_f32_e32 v105, v79, v107
	s_waitcnt vmcnt(12)
	v_mul_f32_e32 v138, v82, v109
	v_mul_f32_e32 v107, v81, v109
	;; [unrolled: 6-line block ×4, first 2 shown]
	v_fma_f32 v134, v75, v83, -v134
	v_fmac_f32_e32 v135, v76, v83
	v_fma_f32 v83, v77, v104, -v136
	v_fmac_f32_e32 v84, v78, v104
	;; [unrolled: 2-line block ×8, first 2 shown]
	ds_write2_b64 v85, v[134:135], v[83:84] offset0:54 offset1:108
	ds_write2_b64 v85, v[104:105], v[106:107] offset0:162 offset1:216
	;; [unrolled: 1-line block ×4, first 2 shown]
	ds_read2_b64 v[75:78], v44 offset0:82 offset1:136
	s_waitcnt vmcnt(5) lgkmcnt(5)
	v_mul_f32_e32 v143, v101, v123
	v_mul_f32_e32 v117, v100, v123
	;; [unrolled: 1-line block ×4, first 2 shown]
	v_fma_f32 v116, v100, v122, -v143
	v_fmac_f32_e32 v117, v101, v122
	v_fma_f32 v79, v102, v118, -v123
	v_fmac_f32_e32 v80, v103, v118
	ds_write2_b64 v87, v[116:117], v[79:80] offset0:102 offset1:156
	s_waitcnt lgkmcnt(1)
	v_mul_f32_e32 v45, v76, v121
	v_mul_f32_e32 v84, v75, v121
	ds_read2_b64 v[79:82], v44 offset0:190 offset1:244
	v_fma_f32 v83, v75, v120, -v45
	v_fmac_f32_e32 v84, v76, v120
	s_waitcnt vmcnt(4)
	v_mul_f32_e32 v45, v78, v125
	v_mul_f32_e32 v76, v77, v125
	v_fma_f32 v75, v77, v124, -v45
	v_fmac_f32_e32 v76, v78, v124
	v_add_u32_e32 v87, 0x1800, v85
	ds_write2_b64 v44, v[83:84], v[75:76] offset0:82 offset1:136
	ds_read2_b64 v[75:78], v87 offset0:42 offset1:96
	s_waitcnt vmcnt(3) lgkmcnt(2)
	v_mul_f32_e32 v45, v80, v127
	v_mul_f32_e32 v84, v79, v127
	v_fma_f32 v83, v79, v126, -v45
	v_fmac_f32_e32 v84, v80, v126
	s_waitcnt vmcnt(2)
	v_mul_f32_e32 v45, v82, v129
	v_mul_f32_e32 v80, v81, v129
	v_fma_f32 v79, v81, v128, -v45
	v_fmac_f32_e32 v80, v82, v128
	ds_write2_b64 v44, v[83:84], v[79:80] offset0:190 offset1:244
	s_waitcnt vmcnt(1) lgkmcnt(1)
	v_mul_f32_e32 v44, v76, v131
	v_mul_f32_e32 v45, v75, v131
	v_fma_f32 v44, v75, v130, -v44
	v_fmac_f32_e32 v45, v76, v130
	s_waitcnt vmcnt(0)
	v_mul_f32_e32 v75, v78, v133
	v_mul_f32_e32 v76, v77, v133
	v_fma_f32 v75, v77, v132, -v75
	v_fmac_f32_e32 v76, v78, v132
	ds_write2_b64 v87, v[44:45], v[75:76] offset0:42 offset1:96
.LBB0_13:
	s_or_b64 exec, exec, s[12:13]
	s_waitcnt lgkmcnt(0)
	s_barrier
	s_and_saveexec_b64 s[12:13], s[0:1]
	s_cbranch_execz .LBB0_15
; %bb.14:
	v_add_u32_e32 v0, 0x400, v85
	ds_read2_b64 v[40:43], v85 offset1:54
	ds_read2_b64 v[54:57], v85 offset0:108 offset1:162
	ds_read2_b64 v[48:51], v0 offset0:88 offset1:142
	v_add_u32_e32 v0, 0x800, v85
	ds_read2_b64 v[58:61], v0 offset0:68 offset1:122
	ds_read2_b64 v[44:47], v0 offset0:176 offset1:230
	v_add_u32_e32 v0, 0x1000, v85
	;; [unrolled: 3-line block ×3, first 2 shown]
	ds_read2_b64 v[0:3], v0 offset0:116 offset1:170
	ds_read_b64 v[63:64], v85 offset:6912
	s_waitcnt lgkmcnt(4)
	v_mov_b32_e32 v52, v44
	v_mov_b32_e32 v53, v45
.LBB0_15:
	s_or_b64 exec, exec, s[12:13]
	s_waitcnt lgkmcnt(0)
	v_sub_f32_e32 v108, v43, v64
	v_add_f32_e32 v92, v63, v42
	v_add_f32_e32 v112, v64, v43
	s_mov_b32 s14, 0xbf7ba420
	v_mul_f32_e32 v75, 0xbe3c28d5, v108
	v_sub_f32_e32 v109, v55, v3
	v_mul_f32_e32 v76, 0xbf7ba420, v112
	v_fma_f32 v44, v92, s14, -v75
	v_add_f32_e32 v93, v2, v54
	v_add_f32_e32 v114, v3, v55
	s_mov_b32 s15, 0x3f6eb680
	v_mul_f32_e32 v77, 0x3eb8f4ab, v109
	v_sub_f32_e32 v95, v42, v63
	v_add_f32_e32 v44, v40, v44
	v_mov_b32_e32 v45, v76
	v_mul_f32_e32 v79, 0x3f6eb680, v114
	v_fma_f32 v78, v93, s15, -v77
	v_fmac_f32_e32 v45, 0xbe3c28d5, v95
	v_sub_f32_e32 v97, v54, v2
	v_add_f32_e32 v44, v78, v44
	v_mov_b32_e32 v78, v79
	v_add_f32_e32 v45, v41, v45
	v_fmac_f32_e32 v78, 0x3eb8f4ab, v97
	v_sub_f32_e32 v110, v57, v1
	v_add_f32_e32 v45, v78, v45
	v_add_f32_e32 v94, v0, v56
	;; [unrolled: 1-line block ×3, first 2 shown]
	v_mul_f32_e32 v78, 0xbf06c442, v110
	v_mul_f32_e32 v81, 0xbf59a7d5, v116
	v_fma_f32 v80, v94, s16, -v78
	v_sub_f32_e32 v99, v56, v0
	v_add_f32_e32 v44, v80, v44
	v_mov_b32_e32 v80, v81
	v_fmac_f32_e32 v80, 0xbf06c442, v99
	v_sub_f32_e32 v111, v49, v7
	v_add_f32_e32 v45, v80, v45
	v_add_f32_e32 v96, v6, v48
	v_add_f32_e32 v118, v7, v49
	s_mov_b32 s17, 0x3f3d2fb0
	v_mul_f32_e32 v80, 0x3f2c7751, v111
	v_mul_f32_e32 v83, 0x3f3d2fb0, v118
	v_fma_f32 v82, v96, s17, -v80
	v_sub_f32_e32 v101, v48, v6
	v_add_f32_e32 v44, v82, v44
	v_mov_b32_e32 v82, v83
	v_fmac_f32_e32 v82, 0x3f2c7751, v101
	v_sub_f32_e32 v113, v51, v5
	v_add_f32_e32 v45, v82, v45
	v_add_f32_e32 v98, v4, v50
	v_add_f32_e32 v120, v5, v51
	s_mov_b32 s18, 0xbf1a4643
	;; [unrolled: 12-line block ×3, first 2 shown]
	v_mul_f32_e32 v84, 0x3f65296c, v115
	v_mul_f32_e32 v126, 0x3ee437d1, v121
	v_fma_f32 v87, v100, s19, -v84
	v_sub_f32_e32 v104, v58, v10
	v_add_f32_e32 v44, v87, v44
	v_mov_b32_e32 v87, v126
	v_sub_f32_e32 v117, v61, v9
	v_fmac_f32_e32 v87, 0x3f65296c, v104
	v_add_f32_e32 v102, v8, v60
	v_add_f32_e32 v122, v9, v61
	s_mov_b32 s20, 0xbe8c1d8e
	v_mul_f32_e32 v125, 0xbf763a35, v117
	v_add_f32_e32 v45, v87, v45
	v_mul_f32_e32 v128, 0xbe8c1d8e, v122
	v_fma_f32 v87, v102, s20, -v125
	v_sub_f32_e32 v106, v60, v8
	v_add_f32_e32 v44, v87, v44
	v_mov_b32_e32 v87, v128
	v_sub_f32_e32 v119, v53, v47
	v_fmac_f32_e32 v87, 0xbf763a35, v106
	v_add_f32_e32 v105, v46, v52
	v_add_f32_e32 v123, v47, v53
	s_mov_b32 s21, 0x3dbcf732
	v_mul_f32_e32 v127, 0x3f7ee86f, v119
	v_add_f32_e32 v45, v87, v45
	v_mul_f32_e32 v129, 0x3dbcf732, v123
	v_fma_f32 v87, v105, s21, -v127
	v_sub_f32_e32 v107, v52, v46
	v_add_f32_e32 v44, v87, v44
	v_mov_b32_e32 v87, v129
	v_fmac_f32_e32 v87, 0x3f7ee86f, v107
	v_add_f32_e32 v45, v87, v45
	s_barrier
	s_and_saveexec_b64 s[12:13], s[0:1]
	s_cbranch_execz .LBB0_17
; %bb.16:
	v_mul_f32_e32 v87, 0xbf7ba420, v92
	v_mul_f32_e32 v131, 0x3f6eb680, v93
	v_add_f32_e32 v75, v87, v75
	v_mul_f32_e32 v130, 0xbe3c28d5, v95
	v_mul_f32_e32 v133, 0xbf59a7d5, v94
	v_add_f32_e32 v75, v40, v75
	v_add_f32_e32 v77, v131, v77
	v_mul_f32_e32 v132, 0x3eb8f4ab, v97
	v_mul_f32_e32 v135, 0x3f3d2fb0, v96
	v_sub_f32_e32 v76, v76, v130
	v_add_f32_e32 v75, v77, v75
	v_add_f32_e32 v77, v133, v78
	v_mul_f32_e32 v134, 0xbf06c442, v99
	v_mul_f32_e32 v137, 0xbf1a4643, v98
	v_add_f32_e32 v76, v41, v76
	v_sub_f32_e32 v79, v79, v132
	v_add_f32_e32 v75, v77, v75
	v_add_f32_e32 v77, v135, v80
	v_mul_f32_e32 v136, 0x3f2c7751, v101
	v_mul_f32_e32 v139, 0x3ee437d1, v100
	v_add_f32_e32 v76, v79, v76
	;; [unrolled: 6-line block ×4, first 2 shown]
	v_sub_f32_e32 v79, v124, v138
	v_add_f32_e32 v75, v77, v75
	v_add_f32_e32 v77, v141, v125
	v_mul_f32_e32 v142, 0xbf763a35, v106
	v_add_f32_e32 v76, v79, v76
	v_sub_f32_e32 v79, v126, v140
	v_add_f32_e32 v75, v77, v75
	v_add_f32_e32 v77, v143, v127
	v_mul_f32_e32 v87, 0xbf59a7d5, v112
	v_add_f32_e32 v76, v79, v76
	v_sub_f32_e32 v79, v128, v142
	v_add_f32_e32 v75, v77, v75
	v_mov_b32_e32 v77, v87
	v_mul_f32_e32 v128, 0x3ee437d1, v114
	v_mul_f32_e32 v144, 0x3f7ee86f, v107
	v_fmac_f32_e32 v77, 0x3f06c442, v95
	v_mov_b32_e32 v78, v128
	v_add_f32_e32 v76, v79, v76
	v_sub_f32_e32 v79, v129, v144
	v_add_f32_e32 v77, v41, v77
	v_fmac_f32_e32 v78, 0xbf65296c, v97
	v_mul_f32_e32 v129, 0x3dbcf732, v116
	v_add_f32_e32 v77, v78, v77
	v_mov_b32_e32 v78, v129
	v_fmac_f32_e32 v78, 0x3f7ee86f, v99
	v_mul_f32_e32 v130, 0xbf1a4643, v118
	v_add_f32_e32 v77, v78, v77
	v_mov_b32_e32 v78, v130
	;; [unrolled: 4-line block ×7, first 2 shown]
	v_mul_f32_e32 v136, 0x3f65296c, v109
	v_add_f32_e32 v76, v79, v76
	v_fmac_f32_e32 v77, 0xbf59a7d5, v92
	v_mov_b32_e32 v79, v136
	v_add_f32_e32 v77, v40, v77
	v_fmac_f32_e32 v79, 0x3ee437d1, v93
	v_mul_f32_e32 v137, 0xbf7ee86f, v110
	v_add_f32_e32 v77, v79, v77
	v_mov_b32_e32 v79, v137
	v_fmac_f32_e32 v79, 0x3dbcf732, v94
	v_mul_f32_e32 v138, 0x3f4c4adb, v111
	v_add_f32_e32 v77, v79, v77
	v_mov_b32_e32 v79, v138
	v_fmac_f32_e32 v79, 0xbf1a4643, v96
	v_mul_f32_e32 v139, 0xbeb8f4ab, v113
	v_add_f32_e32 v77, v79, v77
	v_mov_b32_e32 v79, v139
	v_fmac_f32_e32 v79, 0x3f6eb680, v98
	v_mul_f32_e32 v140, 0xbe3c28d5, v115
	v_add_f32_e32 v77, v79, v77
	v_mov_b32_e32 v79, v140
	v_fmac_f32_e32 v79, 0xbf7ba420, v100
	v_mul_f32_e32 v141, 0x3f2c7751, v117
	v_add_f32_e32 v77, v79, v77
	v_mov_b32_e32 v79, v141
	v_fmac_f32_e32 v79, 0x3f3d2fb0, v102
	v_mul_f32_e32 v142, 0xbf763a35, v119
	v_add_f32_e32 v77, v79, v77
	v_mov_b32_e32 v79, v142
	v_fmac_f32_e32 v79, 0xbe8c1d8e, v105
	v_mul_f32_e32 v143, 0xbf1a4643, v112
	v_add_f32_e32 v77, v79, v77
	v_mov_b32_e32 v79, v143
	v_mul_f32_e32 v144, 0xbe8c1d8e, v114
	v_fmac_f32_e32 v79, 0x3f4c4adb, v95
	v_mov_b32_e32 v80, v144
	v_add_f32_e32 v79, v41, v79
	v_fmac_f32_e32 v80, 0xbf763a35, v97
	v_mul_f32_e32 v145, 0x3f6eb680, v116
	v_add_f32_e32 v79, v80, v79
	v_mov_b32_e32 v80, v145
	v_fmac_f32_e32 v80, 0x3eb8f4ab, v99
	v_mul_f32_e32 v146, 0xbf59a7d5, v118
	v_add_f32_e32 v79, v80, v79
	v_mov_b32_e32 v80, v146
	v_fmac_f32_e32 v80, 0x3f06c442, v101
	v_mul_f32_e32 v147, 0x3dbcf732, v120
	v_add_f32_e32 v79, v80, v79
	v_mov_b32_e32 v80, v147
	v_fmac_f32_e32 v80, 0xbf7ee86f, v103
	v_mul_f32_e32 v148, 0x3f3d2fb0, v121
	v_add_f32_e32 v79, v80, v79
	v_mov_b32_e32 v80, v148
	v_fmac_f32_e32 v80, 0x3f2c7751, v104
	v_mul_f32_e32 v149, 0xbf7ba420, v122
	v_add_f32_e32 v79, v80, v79
	v_mov_b32_e32 v80, v149
	v_fmac_f32_e32 v80, 0x3e3c28d5, v106
	v_mul_f32_e32 v150, 0x3ee437d1, v123
	v_add_f32_e32 v79, v80, v79
	v_mov_b32_e32 v80, v150
	v_fmac_f32_e32 v80, 0xbf65296c, v107
	v_mul_f32_e32 v151, 0xbf4c4adb, v108
	v_add_f32_e32 v80, v80, v79
	v_mov_b32_e32 v79, v151
	v_mul_f32_e32 v152, 0x3f763a35, v109
	;; [unrolled: 32-line block ×5, first 2 shown]
	v_fmac_f32_e32 v83, 0x3f7ee86f, v95
	v_mov_b32_e32 v84, v176
	v_add_f32_e32 v83, v41, v83
	v_fmac_f32_e32 v84, 0x3e3c28d5, v97
	v_mul_f32_e32 v177, 0xbe8c1d8e, v116
	v_add_f32_e32 v43, v43, v41
	v_add_f32_e32 v83, v84, v83
	v_mov_b32_e32 v84, v177
	v_add_f32_e32 v43, v55, v43
	v_fmac_f32_e32 v84, 0xbf763a35, v99
	v_mul_f32_e32 v178, 0x3f6eb680, v118
	v_add_f32_e32 v43, v57, v43
	v_add_f32_e32 v83, v84, v83
	;; [unrolled: 6-line block ×7, first 2 shown]
	v_mov_b32_e32 v83, v183
	v_mul_f32_e32 v184, 0xbe3c28d5, v109
	v_add_f32_e32 v1, v1, v5
	v_fmac_f32_e32 v83, 0x3dbcf732, v92
	v_mov_b32_e32 v124, v184
	v_add_f32_e32 v1, v3, v1
	v_add_f32_e32 v3, v42, v40
	;; [unrolled: 1-line block ×3, first 2 shown]
	v_fmac_f32_e32 v124, 0xbf7ba420, v93
	v_mul_f32_e32 v185, 0x3f763a35, v110
	v_add_f32_e32 v3, v54, v3
	v_add_f32_e32 v83, v124, v83
	v_mov_b32_e32 v124, v185
	v_add_f32_e32 v3, v56, v3
	v_fmac_f32_e32 v124, 0xbe8c1d8e, v94
	v_mul_f32_e32 v186, 0x3eb8f4ab, v111
	v_add_f32_e32 v3, v48, v3
	v_add_f32_e32 v83, v124, v83
	v_mov_b32_e32 v124, v186
	v_add_f32_e32 v3, v50, v3
	;; [unrolled: 6-line block ×6, first 2 shown]
	v_fmac_f32_e32 v124, 0x3f3d2fb0, v105
	v_mul_f32_e32 v191, 0x3ee437d1, v112
	v_add_f32_e32 v0, v0, v3
	v_fmac_f32_e32 v87, 0xbf06c442, v95
	v_add_f32_e32 v83, v124, v83
	v_mov_b32_e32 v124, v191
	v_mul_f32_e32 v192, 0xbf1a4643, v114
	v_add_f32_e32 v0, v2, v0
	v_add_f32_e32 v2, v41, v87
	v_fmac_f32_e32 v128, 0x3f65296c, v97
	v_fmac_f32_e32 v124, 0x3f65296c, v95
	v_mov_b32_e32 v125, v192
	v_add_f32_e32 v2, v128, v2
	v_fmac_f32_e32 v129, 0xbf7ee86f, v99
	v_add_f32_e32 v124, v41, v124
	v_fmac_f32_e32 v125, 0x3f4c4adb, v97
	v_mul_f32_e32 v193, 0xbf7ba420, v116
	v_add_f32_e32 v2, v129, v2
	v_fmac_f32_e32 v130, 0x3f4c4adb, v101
	v_add_f32_e32 v124, v125, v124
	v_mov_b32_e32 v125, v193
	v_add_f32_e32 v2, v130, v2
	v_fmac_f32_e32 v131, 0xbeb8f4ab, v103
	v_fmac_f32_e32 v125, 0xbe3c28d5, v99
	v_mul_f32_e32 v194, 0xbe8c1d8e, v118
	v_add_f32_e32 v2, v131, v2
	v_fmac_f32_e32 v132, 0xbe3c28d5, v104
	v_add_f32_e32 v124, v125, v124
	v_mov_b32_e32 v125, v194
	v_add_f32_e32 v2, v132, v2
	v_fmac_f32_e32 v133, 0x3f2c7751, v106
	v_fmac_f32_e32 v125, 0xbf763a35, v101
	v_mul_f32_e32 v195, 0x3f3d2fb0, v120
	v_add_f32_e32 v2, v133, v2
	v_fmac_f32_e32 v134, 0xbf763a35, v107
	v_add_f32_e32 v124, v125, v124
	v_mov_b32_e32 v125, v195
	v_add_f32_e32 v3, v134, v2
	v_fma_f32 v2, v92, s16, -v135
	v_fmac_f32_e32 v125, 0xbf2c7751, v103
	v_mul_f32_e32 v196, 0x3f6eb680, v121
	v_add_f32_e32 v2, v40, v2
	v_fma_f32 v4, v93, s19, -v136
	v_add_f32_e32 v124, v125, v124
	v_mov_b32_e32 v125, v196
	v_add_f32_e32 v2, v4, v2
	v_fma_f32 v4, v94, s21, -v137
	v_fmac_f32_e32 v125, 0x3eb8f4ab, v104
	v_mul_f32_e32 v197, 0x3dbcf732, v122
	v_add_f32_e32 v2, v4, v2
	v_fma_f32 v4, v96, s18, -v138
	v_add_f32_e32 v124, v125, v124
	v_mov_b32_e32 v125, v197
	v_add_f32_e32 v2, v4, v2
	v_fma_f32 v4, v98, s15, -v139
	v_fmac_f32_e32 v125, 0x3f7ee86f, v106
	v_mul_f32_e32 v198, 0xbf59a7d5, v123
	v_add_f32_e32 v2, v4, v2
	v_fma_f32 v4, v100, s14, -v140
	v_add_f32_e32 v124, v125, v124
	v_mov_b32_e32 v125, v198
	v_add_f32_e32 v2, v4, v2
	v_fma_f32 v4, v102, s17, -v141
	v_fmac_f32_e32 v125, 0x3f06c442, v107
	v_mul_f32_e32 v199, 0xbf65296c, v108
	v_add_f32_e32 v2, v4, v2
	v_fma_f32 v4, v105, s20, -v142
	v_fmac_f32_e32 v143, 0xbf4c4adb, v95
	v_add_f32_e32 v125, v125, v124
	v_mov_b32_e32 v124, v199
	v_mul_f32_e32 v200, 0xbf4c4adb, v109
	v_add_f32_e32 v2, v4, v2
	v_add_f32_e32 v4, v41, v143
	v_fmac_f32_e32 v144, 0x3f763a35, v97
	v_fmac_f32_e32 v124, 0x3ee437d1, v92
	v_mov_b32_e32 v126, v200
	v_add_f32_e32 v4, v144, v4
	v_fmac_f32_e32 v145, 0xbeb8f4ab, v99
	v_add_f32_e32 v124, v40, v124
	v_fmac_f32_e32 v126, 0xbf1a4643, v93
	v_mul_f32_e32 v201, 0x3e3c28d5, v110
	v_add_f32_e32 v4, v145, v4
	v_fmac_f32_e32 v146, 0xbf06c442, v101
	v_add_f32_e32 v124, v126, v124
	v_mov_b32_e32 v126, v201
	v_add_f32_e32 v4, v146, v4
	v_fmac_f32_e32 v147, 0x3f7ee86f, v103
	v_fmac_f32_e32 v126, 0xbf7ba420, v94
	v_mul_f32_e32 v202, 0x3f763a35, v111
	v_add_f32_e32 v4, v147, v4
	v_fmac_f32_e32 v148, 0xbf2c7751, v104
	v_add_f32_e32 v124, v126, v124
	v_mov_b32_e32 v126, v202
	v_add_f32_e32 v4, v148, v4
	v_fmac_f32_e32 v149, 0xbe3c28d5, v106
	v_fmac_f32_e32 v126, 0xbe8c1d8e, v96
	v_mul_f32_e32 v203, 0x3f2c7751, v113
	v_add_f32_e32 v4, v149, v4
	v_fmac_f32_e32 v150, 0x3f65296c, v107
	v_add_f32_e32 v124, v126, v124
	v_mov_b32_e32 v126, v203
	v_add_f32_e32 v5, v150, v4
	v_fma_f32 v4, v92, s18, -v151
	v_fmac_f32_e32 v126, 0x3f3d2fb0, v98
	v_mul_f32_e32 v204, 0xbeb8f4ab, v115
	v_add_f32_e32 v4, v40, v4
	v_fma_f32 v6, v93, s20, -v152
	v_add_f32_e32 v124, v126, v124
	v_mov_b32_e32 v126, v204
	v_add_f32_e32 v4, v6, v4
	v_fma_f32 v6, v94, s15, -v153
	v_fmac_f32_e32 v126, 0x3f6eb680, v100
	v_mul_f32_e32 v205, 0xbf7ee86f, v117
	v_add_f32_e32 v4, v6, v4
	v_fma_f32 v6, v96, s16, -v154
	v_add_f32_e32 v124, v126, v124
	v_mov_b32_e32 v126, v205
	v_add_f32_e32 v4, v6, v4
	v_fma_f32 v6, v98, s21, -v155
	v_fmac_f32_e32 v126, 0x3dbcf732, v102
	v_mul_f32_e32 v206, 0xbf06c442, v119
	v_add_f32_e32 v4, v6, v4
	v_fma_f32 v6, v100, s17, -v156
	v_add_f32_e32 v124, v126, v124
	v_mov_b32_e32 v126, v206
	v_add_f32_e32 v4, v6, v4
	v_fma_f32 v6, v102, s14, -v157
	v_fmac_f32_e32 v126, 0xbf59a7d5, v105
	v_mul_f32_e32 v207, 0x3f3d2fb0, v112
	v_add_f32_e32 v4, v6, v4
	v_fma_f32 v6, v105, s19, -v158
	v_fmac_f32_e32 v159, 0xbf763a35, v95
	v_add_f32_e32 v124, v126, v124
	v_mov_b32_e32 v126, v207
	v_mul_f32_e32 v208, 0x3dbcf732, v114
	v_add_f32_e32 v4, v6, v4
	v_add_f32_e32 v6, v41, v159
	v_fmac_f32_e32 v160, 0x3f06c442, v97
	v_fmac_f32_e32 v126, 0x3f2c7751, v95
	v_mov_b32_e32 v127, v208
	v_add_f32_e32 v6, v160, v6
	v_fmac_f32_e32 v161, 0x3f2c7751, v99
	v_add_f32_e32 v126, v41, v126
	v_fmac_f32_e32 v127, 0x3f7ee86f, v97
	v_mul_f32_e32 v209, 0xbf1a4643, v116
	v_add_f32_e32 v6, v161, v6
	v_fmac_f32_e32 v162, 0xbf65296c, v101
	v_add_f32_e32 v126, v127, v126
	v_mov_b32_e32 v127, v209
	v_add_f32_e32 v6, v162, v6
	v_fmac_f32_e32 v163, 0xbe3c28d5, v103
	v_fmac_f32_e32 v127, 0x3f4c4adb, v99
	v_mul_f32_e32 v210, 0xbf7ba420, v118
	v_add_f32_e32 v6, v163, v6
	v_fmac_f32_e32 v164, 0x3f7ee86f, v104
	v_add_f32_e32 v126, v127, v126
	v_mov_b32_e32 v127, v210
	v_add_f32_e32 v6, v164, v6
	v_fmac_f32_e32 v165, 0xbeb8f4ab, v106
	v_fmac_f32_e32 v127, 0x3e3c28d5, v101
	v_mul_f32_e32 v211, 0xbf59a7d5, v120
	v_add_f32_e32 v6, v165, v6
	v_fmac_f32_e32 v166, 0xbf4c4adb, v107
	v_add_f32_e32 v126, v127, v126
	v_mov_b32_e32 v127, v211
	v_add_f32_e32 v7, v166, v6
	v_fma_f32 v6, v92, s20, -v167
	v_fmac_f32_e32 v127, 0xbf06c442, v103
	v_mul_f32_e32 v212, 0xbe8c1d8e, v121
	v_add_f32_e32 v6, v40, v6
	v_fma_f32 v8, v93, s16, -v168
	v_add_f32_e32 v126, v127, v126
	v_mov_b32_e32 v127, v212
	v_add_f32_e32 v6, v8, v6
	v_fma_f32 v8, v94, s17, -v169
	v_fmac_f32_e32 v127, 0xbf763a35, v104
	v_mul_f32_e32 v213, 0x3ee437d1, v122
	v_add_f32_e32 v6, v8, v6
	v_fma_f32 v8, v96, s19, -v170
	v_add_f32_e32 v126, v127, v126
	v_mov_b32_e32 v127, v213
	v_add_f32_e32 v6, v8, v6
	v_fma_f32 v8, v98, s14, -v171
	v_fmac_f32_e32 v127, 0xbf65296c, v106
	v_mul_f32_e32 v214, 0x3f6eb680, v123
	v_add_f32_e32 v6, v8, v6
	v_fma_f32 v8, v100, s21, -v172
	v_add_f32_e32 v126, v127, v126
	v_mov_b32_e32 v127, v214
	v_add_f32_e32 v6, v8, v6
	v_fma_f32 v8, v102, s15, -v173
	v_fmac_f32_e32 v127, 0xbeb8f4ab, v107
	v_mul_f32_e32 v215, 0xbf2c7751, v108
	v_add_f32_e32 v6, v8, v6
	v_fma_f32 v8, v105, s18, -v174
	v_fmac_f32_e32 v175, 0xbf7ee86f, v95
	v_add_f32_e32 v127, v127, v126
	v_mov_b32_e32 v126, v215
	v_mul_f32_e32 v216, 0xbf7ee86f, v109
	v_add_f32_e32 v6, v8, v6
	v_add_f32_e32 v8, v41, v175
	v_fmac_f32_e32 v176, 0xbe3c28d5, v97
	v_fmac_f32_e32 v126, 0x3f3d2fb0, v92
	v_mov_b32_e32 v217, v216
	v_add_f32_e32 v8, v176, v8
	v_fmac_f32_e32 v177, 0x3f763a35, v99
	v_add_f32_e32 v126, v40, v126
	v_fmac_f32_e32 v217, 0x3dbcf732, v93
	;; [unrolled: 2-line block ×3, first 2 shown]
	v_add_f32_e32 v126, v217, v126
	v_mul_f32_e32 v217, 0xbf4c4adb, v110
	v_add_f32_e32 v8, v178, v8
	v_fmac_f32_e32 v179, 0xbf65296c, v103
	v_mov_b32_e32 v218, v217
	v_add_f32_e32 v8, v179, v8
	v_fmac_f32_e32 v180, 0xbf06c442, v104
	v_fmac_f32_e32 v218, 0xbf1a4643, v94
	v_add_f32_e32 v8, v180, v8
	v_fmac_f32_e32 v181, 0x3f4c4adb, v106
	v_add_f32_e32 v126, v218, v126
	v_mul_f32_e32 v218, 0xbe3c28d5, v111
	v_add_f32_e32 v8, v181, v8
	v_fmac_f32_e32 v182, 0x3f2c7751, v107
	v_mov_b32_e32 v219, v218
	v_add_f32_e32 v9, v182, v8
	v_fma_f32 v8, v92, s21, -v183
	v_fmac_f32_e32 v219, 0xbf7ba420, v96
	v_add_f32_e32 v8, v40, v8
	v_fma_f32 v10, v93, s14, -v184
	v_add_f32_e32 v126, v219, v126
	v_mul_f32_e32 v219, 0x3f06c442, v113
	v_add_f32_e32 v8, v10, v8
	v_fma_f32 v10, v94, s20, -v185
	v_mov_b32_e32 v220, v219
	v_add_f32_e32 v8, v10, v8
	v_fma_f32 v10, v96, s15, -v186
	v_fmac_f32_e32 v220, 0xbf59a7d5, v98
	v_add_f32_e32 v8, v10, v8
	v_fma_f32 v10, v98, s19, -v187
	v_add_f32_e32 v126, v220, v126
	v_mul_f32_e32 v220, 0x3f763a35, v115
	v_add_f32_e32 v8, v10, v8
	v_fma_f32 v10, v100, s16, -v188
	v_mov_b32_e32 v221, v220
	v_add_f32_e32 v8, v10, v8
	v_fma_f32 v10, v102, s18, -v189
	v_fmac_f32_e32 v221, 0xbe8c1d8e, v100
	v_add_f32_e32 v8, v10, v8
	v_fma_f32 v10, v105, s17, -v190
	v_fmac_f32_e32 v191, 0xbf65296c, v95
	v_add_f32_e32 v126, v221, v126
	v_mul_f32_e32 v221, 0x3f65296c, v117
	v_add_f32_e32 v8, v10, v8
	v_add_f32_e32 v10, v41, v191
	v_fmac_f32_e32 v192, 0xbf4c4adb, v97
	v_mov_b32_e32 v222, v221
	v_add_f32_e32 v10, v192, v10
	v_fmac_f32_e32 v193, 0x3e3c28d5, v99
	v_fmac_f32_e32 v222, 0x3ee437d1, v102
	v_add_f32_e32 v10, v193, v10
	v_fmac_f32_e32 v194, 0x3f763a35, v101
	v_add_f32_e32 v126, v222, v126
	v_mul_f32_e32 v222, 0x3eb8f4ab, v119
	v_add_f32_e32 v10, v194, v10
	v_fmac_f32_e32 v195, 0x3f2c7751, v103
	v_mov_b32_e32 v223, v222
	v_add_f32_e32 v10, v195, v10
	v_fmac_f32_e32 v196, 0xbeb8f4ab, v104
	v_fmac_f32_e32 v223, 0x3f6eb680, v105
	v_add_f32_e32 v10, v196, v10
	v_fmac_f32_e32 v197, 0xbf7ee86f, v106
	v_add_f32_e32 v126, v223, v126
	v_mul_f32_e32 v223, 0x3f6eb680, v112
	v_add_f32_e32 v10, v197, v10
	v_fmac_f32_e32 v198, 0xbf06c442, v107
	v_mov_b32_e32 v112, v223
	v_mul_f32_e32 v114, 0x3f3d2fb0, v114
	v_add_f32_e32 v11, v198, v10
	v_fma_f32 v10, v92, s19, -v199
	v_fmac_f32_e32 v112, 0x3eb8f4ab, v95
	v_mov_b32_e32 v224, v114
	v_add_f32_e32 v10, v40, v10
	v_fma_f32 v42, v93, s18, -v200
	v_add_f32_e32 v112, v41, v112
	v_fmac_f32_e32 v224, 0x3f2c7751, v97
	v_mul_f32_e32 v116, 0x3ee437d1, v116
	v_add_f32_e32 v10, v42, v10
	v_fma_f32 v42, v94, s14, -v201
	v_add_f32_e32 v112, v224, v112
	v_mov_b32_e32 v224, v116
	v_add_f32_e32 v10, v42, v10
	v_fma_f32 v42, v96, s20, -v202
	v_fmac_f32_e32 v224, 0x3f65296c, v99
	v_mul_f32_e32 v118, 0x3dbcf732, v118
	v_add_f32_e32 v10, v42, v10
	v_fma_f32 v42, v98, s17, -v203
	v_add_f32_e32 v112, v224, v112
	v_mov_b32_e32 v224, v118
	v_add_f32_e32 v10, v42, v10
	v_fma_f32 v42, v100, s15, -v204
	v_fmac_f32_e32 v224, 0x3f7ee86f, v101
	v_mul_f32_e32 v120, 0xbe8c1d8e, v120
	v_add_f32_e32 v10, v42, v10
	v_fma_f32 v42, v102, s21, -v205
	v_add_f32_e32 v112, v224, v112
	v_mov_b32_e32 v224, v120
	v_add_f32_e32 v10, v42, v10
	v_fma_f32 v42, v105, s16, -v206
	v_fmac_f32_e32 v207, 0xbf2c7751, v95
	v_fmac_f32_e32 v224, 0x3f763a35, v103
	v_mul_f32_e32 v121, 0xbf1a4643, v121
	v_add_f32_e32 v10, v42, v10
	v_add_f32_e32 v42, v41, v207
	v_fmac_f32_e32 v208, 0xbf7ee86f, v97
	v_add_f32_e32 v112, v224, v112
	v_mov_b32_e32 v224, v121
	v_add_f32_e32 v42, v208, v42
	v_fmac_f32_e32 v209, 0xbf4c4adb, v99
	v_fmac_f32_e32 v224, 0x3f4c4adb, v104
	v_mul_f32_e32 v122, 0xbf59a7d5, v122
	v_add_f32_e32 v42, v209, v42
	v_fmac_f32_e32 v210, 0xbe3c28d5, v101
	v_add_f32_e32 v112, v224, v112
	v_mov_b32_e32 v224, v122
	v_add_f32_e32 v42, v210, v42
	v_fmac_f32_e32 v211, 0x3f06c442, v103
	v_fmac_f32_e32 v224, 0x3f06c442, v106
	v_mul_f32_e32 v123, 0xbf7ba420, v123
	;; [unrolled: 8-line block ×3, first 2 shown]
	v_add_f32_e32 v42, v213, v42
	v_fmac_f32_e32 v214, 0x3eb8f4ab, v107
	v_add_f32_e32 v112, v224, v112
	v_mov_b32_e32 v224, v108
	v_mul_f32_e32 v109, 0xbf2c7751, v109
	v_add_f32_e32 v43, v214, v42
	v_fma_f32 v42, v92, s17, -v215
	v_fmac_f32_e32 v224, 0x3f6eb680, v92
	v_mov_b32_e32 v225, v109
	v_add_f32_e32 v42, v40, v42
	v_fma_f32 v46, v93, s21, -v216
	v_add_f32_e32 v224, v40, v224
	v_fmac_f32_e32 v225, 0x3f3d2fb0, v93
	v_mul_f32_e32 v110, 0xbf65296c, v110
	v_add_f32_e32 v42, v46, v42
	v_fma_f32 v46, v94, s18, -v217
	v_add_f32_e32 v224, v225, v224
	v_mov_b32_e32 v225, v110
	v_add_f32_e32 v42, v46, v42
	v_fma_f32 v46, v96, s14, -v218
	v_fmac_f32_e32 v225, 0x3ee437d1, v94
	v_add_f32_e32 v42, v46, v42
	v_fma_f32 v46, v98, s16, -v219
	v_add_f32_e32 v224, v225, v224
	v_mul_f32_e32 v225, 0xbf7ee86f, v111
	v_add_f32_e32 v42, v46, v42
	v_fma_f32 v46, v100, s20, -v220
	v_mov_b32_e32 v111, v225
	v_add_f32_e32 v42, v46, v42
	v_fma_f32 v46, v102, s19, -v221
	v_fmac_f32_e32 v111, 0x3dbcf732, v96
	v_mul_f32_e32 v113, 0xbf763a35, v113
	v_add_f32_e32 v42, v46, v42
	v_fma_f32 v46, v105, s15, -v222
	v_add_f32_e32 v111, v111, v224
	v_mov_b32_e32 v224, v113
	v_add_f32_e32 v42, v46, v42
	v_fma_f32 v46, v92, s15, -v108
	v_fmac_f32_e32 v224, 0xbe8c1d8e, v98
	v_mul_f32_e32 v115, 0xbf4c4adb, v115
	v_fmac_f32_e32 v223, 0xbeb8f4ab, v95
	v_add_f32_e32 v40, v40, v46
	v_fma_f32 v46, v93, s17, -v109
	v_add_f32_e32 v111, v224, v111
	v_mov_b32_e32 v224, v115
	v_add_f32_e32 v41, v41, v223
	v_fmac_f32_e32 v114, 0xbf2c7751, v97
	v_add_f32_e32 v40, v46, v40
	v_fma_f32 v46, v94, s19, -v110
	v_fmac_f32_e32 v224, 0xbf1a4643, v100
	v_mul_f32_e32 v117, 0xbf06c442, v117
	v_add_f32_e32 v41, v114, v41
	v_fmac_f32_e32 v116, 0xbf65296c, v99
	v_add_f32_e32 v40, v46, v40
	v_fma_f32 v46, v96, s21, -v225
	v_add_f32_e32 v111, v224, v111
	v_mov_b32_e32 v224, v117
	v_add_f32_e32 v41, v116, v41
	v_fmac_f32_e32 v118, 0xbf7ee86f, v101
	v_add_f32_e32 v40, v46, v40
	v_fma_f32 v46, v98, s20, -v113
	v_fmac_f32_e32 v224, 0xbf59a7d5, v102
	v_mul_f32_e32 v119, 0xbe3c28d5, v119
	v_add_f32_e32 v41, v118, v41
	v_fmac_f32_e32 v120, 0xbf763a35, v103
	v_add_f32_e32 v40, v46, v40
	v_fma_f32 v46, v100, s18, -v115
	v_add_f32_e32 v111, v224, v111
	v_mov_b32_e32 v224, v119
	v_add_f32_e32 v41, v120, v41
	v_fmac_f32_e32 v121, 0xbf4c4adb, v104
	v_add_f32_e32 v40, v46, v40
	v_fma_f32 v46, v102, s16, -v117
	v_fmac_f32_e32 v224, 0xbf7ba420, v105
	v_add_f32_e32 v41, v121, v41
	v_fmac_f32_e32 v122, 0xbf06c442, v106
	v_add_f32_e32 v40, v46, v40
	v_fma_f32 v46, v105, s14, -v119
	v_add_f32_e32 v111, v224, v111
	v_add_f32_e32 v1, v64, v1
	;; [unrolled: 1-line block ×4, first 2 shown]
	v_fmac_f32_e32 v123, 0xbe3c28d5, v107
	v_add_f32_e32 v40, v46, v40
	v_lshlrev_b32_e32 v46, 3, v226
	v_add_f32_e32 v41, v123, v41
	ds_write2_b64 v46, v[0:1], v[111:112] offset1:1
	ds_write2_b64 v46, v[126:127], v[124:125] offset0:2 offset1:3
	ds_write2_b64 v46, v[83:84], v[81:82] offset0:4 offset1:5
	;; [unrolled: 1-line block ×7, first 2 shown]
	ds_write_b64 v46, v[40:41] offset:128
.LBB0_17:
	s_or_b64 exec, exec, s[12:13]
	s_waitcnt lgkmcnt(0)
	s_barrier
	ds_read2_b64 v[0:3], v85 offset1:102
	v_add_u32_e32 v43, 0x400, v85
	ds_read2_b64 v[4:7], v43 offset0:76 offset1:178
	v_add_u32_e32 v40, 0x800, v85
	ds_read2_b64 v[8:11], v40 offset0:152 offset1:254
	s_waitcnt lgkmcnt(2)
	v_mul_f32_e32 v51, v25, v3
	v_fmac_f32_e32 v51, v24, v2
	v_mul_f32_e32 v2, v25, v2
	v_fma_f32 v2, v24, v3, -v2
	s_waitcnt lgkmcnt(1)
	v_mul_f32_e32 v3, v27, v5
	v_add_u32_e32 v50, 0x1000, v85
	v_fmac_f32_e32 v3, v26, v4
	v_mul_f32_e32 v4, v27, v4
	ds_read2_b64 v[46:49], v50 offset0:100 offset1:202
	ds_read_b64 v[41:42], v85 offset:6528
	v_fma_f32 v4, v26, v5, -v4
	v_mul_f32_e32 v5, v21, v7
	v_fmac_f32_e32 v5, v20, v6
	v_mul_f32_e32 v6, v21, v6
	v_fma_f32 v6, v20, v7, -v6
	s_waitcnt lgkmcnt(2)
	v_mul_f32_e32 v20, v23, v9
	v_mul_f32_e32 v7, v23, v8
	v_fmac_f32_e32 v20, v22, v8
	v_fma_f32 v21, v22, v9, -v7
	v_mul_f32_e32 v22, v17, v11
	v_fmac_f32_e32 v22, v16, v10
	v_mul_f32_e32 v7, v17, v10
	s_waitcnt lgkmcnt(1)
	v_mul_f32_e32 v9, v13, v49
	v_mul_f32_e32 v10, v13, v48
	v_fma_f32 v23, v16, v11, -v7
	v_fmac_f32_e32 v9, v12, v48
	v_fma_f32 v10, v12, v49, -v10
	s_waitcnt lgkmcnt(0)
	v_mul_f32_e32 v11, v15, v42
	v_mul_f32_e32 v12, v15, v41
	;; [unrolled: 1-line block ×3, first 2 shown]
	v_fmac_f32_e32 v11, v14, v41
	v_fma_f32 v12, v14, v42, -v12
	v_fmac_f32_e32 v7, v18, v46
	v_mul_f32_e32 v8, v19, v46
	v_add_f32_e32 v15, v2, v12
	v_sub_f32_e32 v13, v51, v11
	v_sub_f32_e32 v12, v2, v12
	v_fma_f32 v8, v18, v47, -v8
	v_add_f32_e32 v19, v4, v10
	v_add_f32_e32 v24, v5, v7
	v_sub_f32_e32 v26, v3, v9
	v_sub_f32_e32 v27, v4, v10
	v_sub_f32_e32 v41, v5, v7
	v_mul_f32_e32 v4, 0x3f248dbb, v13
	v_mul_f32_e32 v5, 0x3f248dbb, v12
	v_sub_f32_e32 v46, v20, v22
	v_sub_f32_e32 v47, v21, v23
	v_add_f32_e32 v25, v6, v8
	v_sub_f32_e32 v42, v6, v8
	v_fmac_f32_e32 v4, 0x3f7c1c5c, v26
	v_fmac_f32_e32 v5, 0x3f7c1c5c, v27
	v_mul_f32_e32 v7, 0xbf248dbb, v46
	v_mul_f32_e32 v6, 0xbf248dbb, v47
	v_add_f32_e32 v14, v51, v11
	v_add_f32_e32 v18, v3, v9
	v_fmac_f32_e32 v4, 0x3f5db3d7, v41
	v_fmac_f32_e32 v5, 0x3f5db3d7, v42
	v_mov_b32_e32 v2, v0
	v_mov_b32_e32 v3, v1
	v_fmac_f32_e32 v7, 0x3f7c1c5c, v13
	v_fmac_f32_e32 v6, 0x3f7c1c5c, v12
	;; [unrolled: 1-line block ×6, first 2 shown]
	s_mov_b32 s12, 0xbf248dbb
	v_fmac_f32_e32 v7, 0xbf5db3d7, v41
	v_fmac_f32_e32 v6, 0xbf5db3d7, v42
	v_add_f32_e32 v8, v46, v13
	v_add_f32_e32 v9, v47, v12
	v_mul_f32_e32 v46, 0x3f7c1c5c, v46
	v_mul_f32_e32 v47, 0x3f7c1c5c, v47
	v_fmac_f32_e32 v2, 0x3e31d0d4, v18
	v_fmac_f32_e32 v3, 0x3e31d0d4, v19
	;; [unrolled: 1-line block ×4, first 2 shown]
	v_sub_f32_e32 v10, v8, v26
	v_sub_f32_e32 v11, v9, v27
	v_fma_f32 v26, v26, s12, -v46
	v_fma_f32 v27, v27, s12, -v47
	v_fmac_f32_e32 v2, -0.5, v24
	v_fmac_f32_e32 v3, -0.5, v25
	v_add_f32_e32 v48, v20, v22
	v_add_f32_e32 v49, v21, v23
	;; [unrolled: 1-line block ×4, first 2 shown]
	v_fmac_f32_e32 v26, 0x3f5db3d7, v41
	v_fmac_f32_e32 v27, 0x3f5db3d7, v42
	;; [unrolled: 1-line block ×6, first 2 shown]
	v_add_f32_e32 v12, v24, v53
	v_add_f32_e32 v13, v25, v54
	v_sub_f32_e32 v2, v2, v5
	v_add_f32_e32 v3, v4, v3
	v_add_f32_e32 v12, v20, v12
	;; [unrolled: 1-line block ×3, first 2 shown]
	v_fma_f32 v16, 2.0, v5, v2
	v_fma_f32 v17, -2.0, v4, v3
	v_mov_b32_e32 v4, v0
	v_mov_b32_e32 v5, v1
	v_add_f32_e32 v12, v22, v12
	v_add_f32_e32 v13, v23, v13
	v_fmac_f32_e32 v4, 0x3f441b7d, v48
	v_fmac_f32_e32 v5, 0x3f441b7d, v49
	v_add_f32_e32 v8, v24, v0
	v_add_f32_e32 v9, v25, v1
	;; [unrolled: 1-line block ×4, first 2 shown]
	v_fmac_f32_e32 v0, 0x3f441b7d, v18
	v_fmac_f32_e32 v1, 0x3f441b7d, v19
	;; [unrolled: 1-line block ×6, first 2 shown]
	v_fmac_f32_e32 v4, -0.5, v24
	v_fmac_f32_e32 v5, -0.5, v25
	v_add_f32_e32 v55, v48, v53
	v_add_f32_e32 v56, v49, v54
	v_fmac_f32_e32 v0, -0.5, v24
	v_fmac_f32_e32 v1, -0.5, v25
	v_fmac_f32_e32 v4, 0xbf708fb2, v18
	v_fmac_f32_e32 v5, 0xbf708fb2, v19
	v_fmac_f32_e32 v8, -0.5, v55
	v_fmac_f32_e32 v9, -0.5, v56
	v_fmac_f32_e32 v0, 0xbf708fb2, v14
	v_fmac_f32_e32 v1, 0xbf708fb2, v15
	v_sub_f32_e32 v4, v4, v6
	v_add_f32_e32 v5, v7, v5
	v_mul_f32_e32 v51, 0x3f5db3d7, v10
	v_mul_f32_e32 v52, 0x3f5db3d7, v11
	v_fmac_f32_e32 v8, 0xbf5db3d7, v11
	v_fmac_f32_e32 v9, 0x3f5db3d7, v10
	v_sub_f32_e32 v0, v0, v27
	v_add_f32_e32 v1, v26, v1
	v_fma_f32 v6, 2.0, v6, v4
	v_fma_f32 v7, -2.0, v7, v5
	v_fma_f32 v10, 2.0, v52, v8
	v_fma_f32 v11, -2.0, v51, v9
	;; [unrolled: 2-line block ×3, first 2 shown]
	s_barrier
	ds_write2_b64 v88, v[12:13], v[2:3] offset1:17
	ds_write2_b64 v88, v[4:5], v[8:9] offset0:34 offset1:51
	ds_write2_b64 v88, v[0:1], v[14:15] offset0:68 offset1:85
	;; [unrolled: 1-line block ×3, first 2 shown]
	ds_write_b64 v88, v[16:17] offset:1088
	v_add_u32_e32 v0, 0xc00, v85
	s_waitcnt lgkmcnt(0)
	s_barrier
	ds_read2_b64 v[4:7], v85 offset1:102
	ds_read2_b64 v[12:15], v0 offset0:75 offset1:177
	ds_read2_b64 v[0:3], v43 offset0:76 offset1:178
	;; [unrolled: 1-line block ×3, first 2 shown]
	s_and_saveexec_b64 s[12:13], s[2:3]
	s_cbranch_execz .LBB0_19
; %bb.18:
	ds_read_b64 v[16:17], v85 offset:3264
	ds_read_b64 v[44:45], v85 offset:6936
.LBB0_19:
	s_or_b64 exec, exec, s[12:13]
	s_waitcnt lgkmcnt(2)
	v_mul_f32_e32 v18, v68, v13
	v_fmac_f32_e32 v18, v67, v12
	v_mul_f32_e32 v12, v68, v12
	v_fma_f32 v12, v67, v13, -v12
	v_mul_f32_e32 v13, v72, v15
	v_fmac_f32_e32 v13, v71, v14
	v_mul_f32_e32 v14, v72, v14
	v_fma_f32 v14, v71, v15, -v14
	s_waitcnt lgkmcnt(0)
	v_mul_f32_e32 v15, v70, v9
	v_fmac_f32_e32 v15, v69, v8
	v_mul_f32_e32 v8, v70, v8
	v_fma_f32 v19, v69, v9, -v8
	v_mul_f32_e32 v20, v74, v11
	v_mul_f32_e32 v8, v74, v10
	v_fmac_f32_e32 v20, v73, v10
	v_fma_f32 v21, v73, v11, -v8
	v_sub_f32_e32 v8, v4, v18
	v_sub_f32_e32 v9, v5, v12
	v_sub_f32_e32 v12, v0, v15
	v_fma_f32 v4, v4, 2.0, -v8
	v_fma_f32 v5, v5, 2.0, -v9
	v_sub_f32_e32 v10, v6, v13
	v_sub_f32_e32 v11, v7, v14
	;; [unrolled: 1-line block ×3, first 2 shown]
	v_fma_f32 v0, v0, 2.0, -v12
	v_sub_f32_e32 v14, v2, v20
	v_sub_f32_e32 v15, v3, v21
	v_fma_f32 v6, v6, 2.0, -v10
	v_fma_f32 v7, v7, 2.0, -v11
	;; [unrolled: 1-line block ×5, first 2 shown]
	s_barrier
	ds_write2_b64 v85, v[4:5], v[8:9] offset1:153
	ds_write2_b64 v91, v[6:7], v[10:11] offset1:153
	ds_write2_b64 v40, v[0:1], v[12:13] offset0:101 offset1:254
	v_add_u32_e32 v0, 0x1000, v90
	ds_write2_b64 v0, v[2:3], v[14:15] offset0:100 offset1:253
	s_and_saveexec_b64 s[12:13], s[2:3]
	s_cbranch_execz .LBB0_21
; %bb.20:
	v_mul_f32_e32 v0, v66, v44
	v_fma_f32 v0, v65, v45, -v0
	v_sub_f32_e32 v1, v17, v0
	v_mul_f32_e32 v0, v66, v45
	v_fmac_f32_e32 v0, v65, v44
	v_sub_f32_e32 v0, v16, v0
	v_fma_f32 v3, v17, 2.0, -v1
	v_fma_f32 v2, v16, 2.0, -v0
	v_add_u32_e32 v4, 0x1000, v89
	ds_write2_b64 v4, v[2:3], v[0:1] offset0:100 offset1:253
.LBB0_21:
	s_or_b64 exec, exec, s[12:13]
	v_add_u32_e32 v20, 0x400, v85
	s_waitcnt lgkmcnt(0)
	s_barrier
	ds_read2_b64 v[6:9], v20 offset0:76 offset1:178
	v_add_u32_e32 v0, 0x1000, v85
	ds_read2_b64 v[10:13], v0 offset0:100 offset1:202
	v_add_u32_e32 v1, 0x800, v85
	ds_read2_b64 v[2:5], v85 offset1:102
	ds_read2_b64 v[14:17], v1 offset0:152 offset1:254
	ds_read_b64 v[18:19], v85 offset:6528
	s_waitcnt lgkmcnt(4)
	v_mul_f32_e32 v21, v29, v9
	v_fmac_f32_e32 v21, v28, v8
	v_mul_f32_e32 v8, v29, v8
	v_fma_f32 v22, v28, v9, -v8
	s_waitcnt lgkmcnt(3)
	v_mul_f32_e32 v8, v31, v10
	v_mul_f32_e32 v23, v31, v11
	v_fma_f32 v11, v30, v11, -v8
	s_waitcnt lgkmcnt(1)
	v_mul_f32_e32 v8, v33, v14
	v_mul_f32_e32 v24, v33, v15
	v_fma_f32 v15, v32, v15, -v8
	v_mul_f32_e32 v8, v35, v12
	v_fmac_f32_e32 v23, v30, v10
	v_fma_f32 v26, v34, v13, -v8
	v_mul_f32_e32 v8, v37, v16
	v_fma_f32 v28, v36, v17, -v8
	s_waitcnt lgkmcnt(0)
	v_mul_f32_e32 v8, v39, v18
	v_add_f32_e32 v9, v21, v23
	v_mul_f32_e32 v29, v39, v19
	v_fma_f32 v19, v38, v19, -v8
	v_add_f32_e32 v8, v2, v21
	v_fma_f32 v2, -0.5, v9, v2
	v_sub_f32_e32 v9, v22, v11
	v_mov_b32_e32 v10, v2
	v_fmac_f32_e32 v10, 0xbf5db3d7, v9
	v_fmac_f32_e32 v2, 0x3f5db3d7, v9
	v_add_f32_e32 v9, v3, v22
	v_mul_f32_e32 v25, v35, v13
	v_add_f32_e32 v9, v9, v11
	v_add_f32_e32 v11, v22, v11
	v_fmac_f32_e32 v24, v32, v14
	v_fmac_f32_e32 v25, v34, v12
	v_fma_f32 v3, -0.5, v11, v3
	v_sub_f32_e32 v12, v21, v23
	v_mov_b32_e32 v11, v3
	v_add_f32_e32 v13, v24, v25
	v_fmac_f32_e32 v11, 0x3f5db3d7, v12
	v_fmac_f32_e32 v3, 0xbf5db3d7, v12
	v_add_f32_e32 v12, v4, v24
	v_fma_f32 v4, -0.5, v13, v4
	v_sub_f32_e32 v13, v15, v26
	v_mov_b32_e32 v14, v4
	v_mul_f32_e32 v27, v37, v17
	v_fmac_f32_e32 v14, 0xbf5db3d7, v13
	v_fmac_f32_e32 v4, 0x3f5db3d7, v13
	v_add_f32_e32 v13, v5, v15
	v_add_f32_e32 v15, v15, v26
	v_fmac_f32_e32 v27, v36, v16
	v_fmac_f32_e32 v29, v38, v18
	v_fmac_f32_e32 v5, -0.5, v15
	v_sub_f32_e32 v16, v24, v25
	v_mov_b32_e32 v15, v5
	v_add_f32_e32 v17, v27, v29
	v_fmac_f32_e32 v15, 0x3f5db3d7, v16
	v_fmac_f32_e32 v5, 0xbf5db3d7, v16
	v_add_f32_e32 v16, v6, v27
	v_fma_f32 v6, -0.5, v17, v6
	v_sub_f32_e32 v17, v28, v19
	v_mov_b32_e32 v18, v6
	v_fmac_f32_e32 v18, 0xbf5db3d7, v17
	v_fmac_f32_e32 v6, 0x3f5db3d7, v17
	v_add_f32_e32 v17, v7, v28
	v_add_f32_e32 v17, v17, v19
	;; [unrolled: 1-line block ×3, first 2 shown]
	v_fmac_f32_e32 v7, -0.5, v19
	s_movk_i32 s2, 0x1000
	v_add_f32_e32 v8, v8, v23
	v_add_f32_e32 v12, v12, v25
	;; [unrolled: 1-line block ×3, first 2 shown]
	v_sub_f32_e32 v21, v27, v29
	v_mov_b32_e32 v19, v7
	v_add_f32_e32 v16, v16, v29
	v_fmac_f32_e32 v19, 0x3f5db3d7, v21
	v_fmac_f32_e32 v7, 0xbf5db3d7, v21
	ds_write2_b64 v85, v[8:9], v[12:13] offset1:102
	ds_write2_b64 v0, v[2:3], v[4:5] offset0:100 offset1:202
	ds_write2_b64 v20, v[16:17], v[10:11] offset0:76 offset1:178
	;; [unrolled: 1-line block ×3, first 2 shown]
	ds_write_b64 v85, v[6:7] offset:6528
	s_waitcnt lgkmcnt(0)
	s_barrier
	s_and_b64 exec, exec, s[0:1]
	s_cbranch_execz .LBB0_23
; %bb.22:
	global_load_dwordx2 v[2:3], v85, s[8:9]
	ds_read_b64 v[4:5], v85
	v_mad_u64_u32 v[6:7], s[0:1], s6, v227, 0
	v_mad_u64_u32 v[8:9], s[0:1], s4, v86, 0
	s_mov_b32 s0, 0x672e4abd
	s_mov_b32 s1, 0x3f51d8f5
	v_mad_u64_u32 v[10:11], s[6:7], s7, v227, v[7:8]
	v_mov_b32_e32 v13, s11
	s_mul_i32 s3, s4, 0x1b0
	v_mad_u64_u32 v[11:12], s[6:7], s5, v86, v[9:10]
	s_mulk_i32 s5, 0x1b0
	s_mul_hi_u32 s6, s4, 0x1b0
	v_mov_b32_e32 v9, v11
	v_lshlrev_b64 v[8:9], 3, v[8:9]
	s_add_i32 s4, s6, s5
	v_mov_b32_e32 v12, s4
	s_waitcnt vmcnt(0) lgkmcnt(0)
	v_mul_f32_e32 v7, v5, v3
	v_mul_f32_e32 v3, v4, v3
	v_fmac_f32_e32 v7, v4, v2
	v_fma_f32 v4, v2, v5, -v3
	v_cvt_f64_f32_e32 v[2:3], v7
	v_cvt_f64_f32_e32 v[4:5], v4
	v_mov_b32_e32 v7, v10
	v_lshlrev_b64 v[6:7], 3, v[6:7]
	v_mul_f64 v[2:3], v[2:3], s[0:1]
	v_mul_f64 v[4:5], v[4:5], s[0:1]
	v_add_co_u32_e32 v6, vcc, s10, v6
	v_addc_co_u32_e32 v7, vcc, v13, v7, vcc
	v_add_co_u32_e32 v6, vcc, v6, v8
	v_cvt_f32_f64_e32 v2, v[2:3]
	v_cvt_f32_f64_e32 v3, v[4:5]
	v_addc_co_u32_e32 v7, vcc, v7, v9, vcc
	global_store_dwordx2 v[6:7], v[2:3], off
	global_load_dwordx2 v[8:9], v85, s[8:9] offset:432
	ds_read2_b64 v[2:5], v85 offset0:54 offset1:108
	v_add_co_u32_e32 v6, vcc, s3, v6
	s_waitcnt vmcnt(0) lgkmcnt(0)
	v_mul_f32_e32 v10, v3, v9
	v_mul_f32_e32 v9, v2, v9
	v_fmac_f32_e32 v10, v2, v8
	v_fma_f32 v8, v8, v3, -v9
	v_cvt_f64_f32_e32 v[2:3], v10
	v_cvt_f64_f32_e32 v[8:9], v8
	v_mov_b32_e32 v10, s4
	v_addc_co_u32_e32 v7, vcc, v7, v10, vcc
	v_mul_f64 v[2:3], v[2:3], s[0:1]
	v_mul_f64 v[8:9], v[8:9], s[0:1]
	v_cvt_f32_f64_e32 v2, v[2:3]
	v_cvt_f32_f64_e32 v3, v[8:9]
	global_store_dwordx2 v[6:7], v[2:3], off
	global_load_dwordx2 v[2:3], v85, s[8:9] offset:864
	v_add_co_u32_e32 v6, vcc, s3, v6
	s_waitcnt vmcnt(0)
	v_mul_f32_e32 v8, v5, v3
	v_mul_f32_e32 v3, v4, v3
	v_fmac_f32_e32 v8, v4, v2
	v_fma_f32 v4, v2, v5, -v3
	v_cvt_f64_f32_e32 v[2:3], v8
	v_cvt_f64_f32_e32 v[4:5], v4
	v_mov_b32_e32 v8, s4
	v_addc_co_u32_e32 v7, vcc, v7, v8, vcc
	v_mul_f64 v[2:3], v[2:3], s[0:1]
	v_mul_f64 v[4:5], v[4:5], s[0:1]
	v_cvt_f32_f64_e32 v2, v[2:3]
	v_cvt_f32_f64_e32 v3, v[4:5]
	global_store_dwordx2 v[6:7], v[2:3], off
	global_load_dwordx2 v[8:9], v85, s[8:9] offset:1296
	ds_read2_b64 v[2:5], v85 offset0:162 offset1:216
	v_add_co_u32_e32 v6, vcc, s3, v6
	s_waitcnt vmcnt(0) lgkmcnt(0)
	v_mul_f32_e32 v10, v3, v9
	v_mul_f32_e32 v9, v2, v9
	v_fmac_f32_e32 v10, v2, v8
	v_fma_f32 v8, v8, v3, -v9
	v_cvt_f64_f32_e32 v[2:3], v10
	v_cvt_f64_f32_e32 v[8:9], v8
	v_mov_b32_e32 v10, s4
	v_addc_co_u32_e32 v7, vcc, v7, v10, vcc
	v_mul_f64 v[2:3], v[2:3], s[0:1]
	v_mul_f64 v[8:9], v[8:9], s[0:1]
	v_cvt_f32_f64_e32 v2, v[2:3]
	v_cvt_f32_f64_e32 v3, v[8:9]
	global_store_dwordx2 v[6:7], v[2:3], off
	global_load_dwordx2 v[2:3], v85, s[8:9] offset:1728
	v_add_co_u32_e32 v6, vcc, s3, v6
	s_waitcnt vmcnt(0)
	v_mul_f32_e32 v8, v5, v3
	v_mul_f32_e32 v3, v4, v3
	v_fmac_f32_e32 v8, v4, v2
	v_fma_f32 v4, v2, v5, -v3
	v_cvt_f64_f32_e32 v[2:3], v8
	v_cvt_f64_f32_e32 v[4:5], v4
	v_mov_b32_e32 v8, s4
	v_addc_co_u32_e32 v7, vcc, v7, v8, vcc
	v_mul_f64 v[2:3], v[2:3], s[0:1]
	v_mul_f64 v[4:5], v[4:5], s[0:1]
	v_cvt_f32_f64_e32 v2, v[2:3]
	v_cvt_f32_f64_e32 v3, v[4:5]
	global_store_dwordx2 v[6:7], v[2:3], off
	global_load_dwordx2 v[8:9], v85, s[8:9] offset:2160
	ds_read2_b64 v[2:5], v1 offset0:14 offset1:68
	v_add_co_u32_e32 v6, vcc, s3, v6
	s_waitcnt vmcnt(0) lgkmcnt(0)
	v_mul_f32_e32 v10, v3, v9
	v_mul_f32_e32 v9, v2, v9
	v_fmac_f32_e32 v10, v2, v8
	v_fma_f32 v8, v8, v3, -v9
	v_cvt_f64_f32_e32 v[2:3], v10
	v_cvt_f64_f32_e32 v[8:9], v8
	v_mov_b32_e32 v10, s4
	v_addc_co_u32_e32 v7, vcc, v7, v10, vcc
	v_mul_f64 v[2:3], v[2:3], s[0:1]
	v_mul_f64 v[8:9], v[8:9], s[0:1]
	v_cvt_f32_f64_e32 v2, v[2:3]
	v_cvt_f32_f64_e32 v3, v[8:9]
	global_store_dwordx2 v[6:7], v[2:3], off
	global_load_dwordx2 v[2:3], v85, s[8:9] offset:2592
	s_waitcnt vmcnt(0)
	v_mul_f32_e32 v8, v5, v3
	v_mul_f32_e32 v3, v4, v3
	v_fmac_f32_e32 v8, v4, v2
	v_fma_f32 v4, v2, v5, -v3
	v_cvt_f64_f32_e32 v[2:3], v8
	v_cvt_f64_f32_e32 v[4:5], v4
	v_mov_b32_e32 v8, s4
	v_mul_f64 v[2:3], v[2:3], s[0:1]
	v_mul_f64 v[4:5], v[4:5], s[0:1]
	v_cvt_f32_f64_e32 v2, v[2:3]
	v_cvt_f32_f64_e32 v3, v[4:5]
	v_add_co_u32_e32 v5, vcc, s3, v6
	v_addc_co_u32_e32 v6, vcc, v7, v8, vcc
	global_store_dwordx2 v[5:6], v[2:3], off
	global_load_dwordx2 v[7:8], v85, s[8:9] offset:3024
	ds_read2_b64 v[1:4], v1 offset0:122 offset1:176
	v_add_co_u32_e32 v5, vcc, s3, v5
	s_waitcnt vmcnt(0) lgkmcnt(0)
	v_mul_f32_e32 v9, v2, v8
	v_mul_f32_e32 v8, v1, v8
	v_fmac_f32_e32 v9, v1, v7
	v_fma_f32 v7, v7, v2, -v8
	v_cvt_f64_f32_e32 v[1:2], v9
	v_cvt_f64_f32_e32 v[7:8], v7
	v_mov_b32_e32 v9, s4
	v_addc_co_u32_e32 v6, vcc, v6, v9, vcc
	v_mul_f64 v[1:2], v[1:2], s[0:1]
	v_mul_f64 v[7:8], v[7:8], s[0:1]
	v_cvt_f32_f64_e32 v1, v[1:2]
	v_cvt_f32_f64_e32 v2, v[7:8]
	global_store_dwordx2 v[5:6], v[1:2], off
	global_load_dwordx2 v[1:2], v85, s[8:9] offset:3456
	v_add_co_u32_e32 v5, vcc, s3, v5
	s_waitcnt vmcnt(0)
	v_mul_f32_e32 v7, v4, v2
	v_mul_f32_e32 v2, v3, v2
	v_fmac_f32_e32 v7, v3, v1
	v_fma_f32 v3, v1, v4, -v2
	v_cvt_f64_f32_e32 v[1:2], v7
	v_cvt_f64_f32_e32 v[3:4], v3
	v_mov_b32_e32 v7, s4
	v_addc_co_u32_e32 v6, vcc, v6, v7, vcc
	v_mul_f64 v[1:2], v[1:2], s[0:1]
	v_mul_f64 v[3:4], v[3:4], s[0:1]
	v_add_co_u32_e32 v10, vcc, s8, v85
	v_cvt_f32_f64_e32 v1, v[1:2]
	v_cvt_f32_f64_e32 v2, v[3:4]
	global_store_dwordx2 v[5:6], v[1:2], off
	global_load_dwordx2 v[7:8], v85, s[8:9] offset:3888
	v_add_u32_e32 v1, 0xc00, v85
	ds_read2_b64 v[1:4], v1 offset0:102 offset1:156
	s_waitcnt vmcnt(0) lgkmcnt(0)
	v_mul_f32_e32 v9, v2, v8
	v_mul_f32_e32 v8, v1, v8
	v_fmac_f32_e32 v9, v1, v7
	v_fma_f32 v7, v7, v2, -v8
	v_cvt_f64_f32_e32 v[1:2], v9
	v_cvt_f64_f32_e32 v[7:8], v7
	v_mov_b32_e32 v9, s9
	v_addc_co_u32_e32 v11, vcc, 0, v9, vcc
	v_mul_f64 v[1:2], v[1:2], s[0:1]
	v_mul_f64 v[7:8], v[7:8], s[0:1]
	v_add_co_u32_e32 v9, vcc, s2, v10
	v_addc_co_u32_e32 v10, vcc, 0, v11, vcc
	v_add_co_u32_e32 v5, vcc, s3, v5
	v_cvt_f32_f64_e32 v1, v[1:2]
	v_cvt_f32_f64_e32 v2, v[7:8]
	v_addc_co_u32_e32 v6, vcc, v6, v12, vcc
	global_store_dwordx2 v[5:6], v[1:2], off
	global_load_dwordx2 v[1:2], v[9:10], off offset:224
	v_add_co_u32_e32 v5, vcc, s3, v5
	s_waitcnt vmcnt(0)
	v_mul_f32_e32 v7, v4, v2
	v_mul_f32_e32 v2, v3, v2
	v_fmac_f32_e32 v7, v3, v1
	v_fma_f32 v3, v1, v4, -v2
	v_cvt_f64_f32_e32 v[1:2], v7
	v_cvt_f64_f32_e32 v[3:4], v3
	v_mov_b32_e32 v7, s4
	v_addc_co_u32_e32 v6, vcc, v6, v7, vcc
	v_mul_f64 v[1:2], v[1:2], s[0:1]
	v_mul_f64 v[3:4], v[3:4], s[0:1]
	v_cvt_f32_f64_e32 v1, v[1:2]
	v_cvt_f32_f64_e32 v2, v[3:4]
	global_store_dwordx2 v[5:6], v[1:2], off
	global_load_dwordx2 v[7:8], v[9:10], off offset:656
	ds_read2_b64 v[1:4], v0 offset0:82 offset1:136
	v_add_co_u32_e32 v5, vcc, s3, v5
	s_waitcnt vmcnt(0) lgkmcnt(0)
	v_mul_f32_e32 v11, v2, v8
	v_mul_f32_e32 v8, v1, v8
	v_fmac_f32_e32 v11, v1, v7
	v_fma_f32 v7, v7, v2, -v8
	v_cvt_f64_f32_e32 v[1:2], v11
	v_cvt_f64_f32_e32 v[7:8], v7
	v_mov_b32_e32 v11, s4
	v_addc_co_u32_e32 v6, vcc, v6, v11, vcc
	v_mul_f64 v[1:2], v[1:2], s[0:1]
	v_mul_f64 v[7:8], v[7:8], s[0:1]
	v_cvt_f32_f64_e32 v1, v[1:2]
	v_cvt_f32_f64_e32 v2, v[7:8]
	global_store_dwordx2 v[5:6], v[1:2], off
	global_load_dwordx2 v[1:2], v[9:10], off offset:1088
	s_waitcnt vmcnt(0)
	v_mul_f32_e32 v7, v4, v2
	v_mul_f32_e32 v2, v3, v2
	v_fmac_f32_e32 v7, v3, v1
	v_fma_f32 v3, v1, v4, -v2
	v_cvt_f64_f32_e32 v[1:2], v7
	v_cvt_f64_f32_e32 v[3:4], v3
	v_mov_b32_e32 v7, s4
	v_mul_f64 v[1:2], v[1:2], s[0:1]
	v_mul_f64 v[3:4], v[3:4], s[0:1]
	v_cvt_f32_f64_e32 v1, v[1:2]
	v_cvt_f32_f64_e32 v2, v[3:4]
	v_add_co_u32_e32 v4, vcc, s3, v5
	v_addc_co_u32_e32 v5, vcc, v6, v7, vcc
	global_store_dwordx2 v[4:5], v[1:2], off
	global_load_dwordx2 v[6:7], v[9:10], off offset:1520
	ds_read2_b64 v[0:3], v0 offset0:190 offset1:244
	v_add_co_u32_e32 v4, vcc, s3, v4
	s_waitcnt vmcnt(0) lgkmcnt(0)
	v_mul_f32_e32 v8, v1, v7
	v_mul_f32_e32 v7, v0, v7
	v_fmac_f32_e32 v8, v0, v6
	v_fma_f32 v6, v6, v1, -v7
	v_cvt_f64_f32_e32 v[0:1], v8
	v_cvt_f64_f32_e32 v[6:7], v6
	v_mov_b32_e32 v8, s4
	v_addc_co_u32_e32 v5, vcc, v5, v8, vcc
	v_mul_f64 v[0:1], v[0:1], s[0:1]
	v_mul_f64 v[6:7], v[6:7], s[0:1]
	v_cvt_f32_f64_e32 v0, v[0:1]
	v_cvt_f32_f64_e32 v1, v[6:7]
	global_store_dwordx2 v[4:5], v[0:1], off
	global_load_dwordx2 v[0:1], v[9:10], off offset:1952
	v_add_co_u32_e32 v4, vcc, s3, v4
	s_waitcnt vmcnt(0)
	v_mul_f32_e32 v6, v3, v1
	v_mul_f32_e32 v1, v2, v1
	v_fmac_f32_e32 v6, v2, v0
	v_fma_f32 v2, v0, v3, -v1
	v_cvt_f64_f32_e32 v[0:1], v6
	v_cvt_f64_f32_e32 v[2:3], v2
	v_mov_b32_e32 v6, s4
	v_addc_co_u32_e32 v5, vcc, v5, v6, vcc
	v_mul_f64 v[0:1], v[0:1], s[0:1]
	v_mul_f64 v[2:3], v[2:3], s[0:1]
	v_cvt_f32_f64_e32 v0, v[0:1]
	v_cvt_f32_f64_e32 v1, v[2:3]
	global_store_dwordx2 v[4:5], v[0:1], off
	global_load_dwordx2 v[6:7], v[9:10], off offset:2384
	v_add_u32_e32 v0, 0x1800, v85
	ds_read2_b64 v[0:3], v0 offset0:42 offset1:96
	v_add_co_u32_e32 v4, vcc, s3, v4
	s_waitcnt vmcnt(0) lgkmcnt(0)
	v_mul_f32_e32 v8, v1, v7
	v_mul_f32_e32 v7, v0, v7
	v_fmac_f32_e32 v8, v0, v6
	v_fma_f32 v6, v6, v1, -v7
	v_cvt_f64_f32_e32 v[0:1], v8
	v_cvt_f64_f32_e32 v[6:7], v6
	v_mov_b32_e32 v8, s4
	v_addc_co_u32_e32 v5, vcc, v5, v8, vcc
	v_mul_f64 v[0:1], v[0:1], s[0:1]
	v_mul_f64 v[6:7], v[6:7], s[0:1]
	v_cvt_f32_f64_e32 v0, v[0:1]
	v_cvt_f32_f64_e32 v1, v[6:7]
	global_store_dwordx2 v[4:5], v[0:1], off
	global_load_dwordx2 v[0:1], v[9:10], off offset:2816
	s_waitcnt vmcnt(0)
	v_mul_f32_e32 v6, v3, v1
	v_mul_f32_e32 v1, v2, v1
	v_fmac_f32_e32 v6, v2, v0
	v_fma_f32 v2, v0, v3, -v1
	v_cvt_f64_f32_e32 v[0:1], v6
	v_cvt_f64_f32_e32 v[2:3], v2
	v_mov_b32_e32 v6, s4
	v_mul_f64 v[0:1], v[0:1], s[0:1]
	v_mul_f64 v[2:3], v[2:3], s[0:1]
	v_cvt_f32_f64_e32 v0, v[0:1]
	v_cvt_f32_f64_e32 v1, v[2:3]
	v_add_co_u32_e32 v2, vcc, s3, v4
	v_addc_co_u32_e32 v3, vcc, v5, v6, vcc
	global_store_dwordx2 v[2:3], v[0:1], off
.LBB0_23:
	s_endpgm
	.section	.rodata,"a",@progbits
	.p2align	6, 0x0
	.amdhsa_kernel bluestein_single_fwd_len918_dim1_sp_op_CI_CI
		.amdhsa_group_segment_fixed_size 7344
		.amdhsa_private_segment_fixed_size 12
		.amdhsa_kernarg_size 104
		.amdhsa_user_sgpr_count 6
		.amdhsa_user_sgpr_private_segment_buffer 1
		.amdhsa_user_sgpr_dispatch_ptr 0
		.amdhsa_user_sgpr_queue_ptr 0
		.amdhsa_user_sgpr_kernarg_segment_ptr 1
		.amdhsa_user_sgpr_dispatch_id 0
		.amdhsa_user_sgpr_flat_scratch_init 0
		.amdhsa_user_sgpr_private_segment_size 0
		.amdhsa_uses_dynamic_stack 0
		.amdhsa_system_sgpr_private_segment_wavefront_offset 1
		.amdhsa_system_sgpr_workgroup_id_x 1
		.amdhsa_system_sgpr_workgroup_id_y 0
		.amdhsa_system_sgpr_workgroup_id_z 0
		.amdhsa_system_sgpr_workgroup_info 0
		.amdhsa_system_vgpr_workitem_id 0
		.amdhsa_next_free_vgpr 256
		.amdhsa_next_free_sgpr 28
		.amdhsa_reserve_vcc 1
		.amdhsa_reserve_flat_scratch 0
		.amdhsa_float_round_mode_32 0
		.amdhsa_float_round_mode_16_64 0
		.amdhsa_float_denorm_mode_32 3
		.amdhsa_float_denorm_mode_16_64 3
		.amdhsa_dx10_clamp 1
		.amdhsa_ieee_mode 1
		.amdhsa_fp16_overflow 0
		.amdhsa_exception_fp_ieee_invalid_op 0
		.amdhsa_exception_fp_denorm_src 0
		.amdhsa_exception_fp_ieee_div_zero 0
		.amdhsa_exception_fp_ieee_overflow 0
		.amdhsa_exception_fp_ieee_underflow 0
		.amdhsa_exception_fp_ieee_inexact 0
		.amdhsa_exception_int_div_zero 0
	.end_amdhsa_kernel
	.text
.Lfunc_end0:
	.size	bluestein_single_fwd_len918_dim1_sp_op_CI_CI, .Lfunc_end0-bluestein_single_fwd_len918_dim1_sp_op_CI_CI
                                        ; -- End function
	.section	.AMDGPU.csdata,"",@progbits
; Kernel info:
; codeLenInByte = 18364
; NumSgprs: 32
; NumVgprs: 256
; ScratchSize: 12
; MemoryBound: 0
; FloatMode: 240
; IeeeMode: 1
; LDSByteSize: 7344 bytes/workgroup (compile time only)
; SGPRBlocks: 3
; VGPRBlocks: 63
; NumSGPRsForWavesPerEU: 32
; NumVGPRsForWavesPerEU: 256
; Occupancy: 1
; WaveLimiterHint : 1
; COMPUTE_PGM_RSRC2:SCRATCH_EN: 1
; COMPUTE_PGM_RSRC2:USER_SGPR: 6
; COMPUTE_PGM_RSRC2:TRAP_HANDLER: 0
; COMPUTE_PGM_RSRC2:TGID_X_EN: 1
; COMPUTE_PGM_RSRC2:TGID_Y_EN: 0
; COMPUTE_PGM_RSRC2:TGID_Z_EN: 0
; COMPUTE_PGM_RSRC2:TIDIG_COMP_CNT: 0
	.type	__hip_cuid_850687f93584cbd0,@object ; @__hip_cuid_850687f93584cbd0
	.section	.bss,"aw",@nobits
	.globl	__hip_cuid_850687f93584cbd0
__hip_cuid_850687f93584cbd0:
	.byte	0                               ; 0x0
	.size	__hip_cuid_850687f93584cbd0, 1

	.ident	"AMD clang version 19.0.0git (https://github.com/RadeonOpenCompute/llvm-project roc-6.4.0 25133 c7fe45cf4b819c5991fe208aaa96edf142730f1d)"
	.section	".note.GNU-stack","",@progbits
	.addrsig
	.addrsig_sym __hip_cuid_850687f93584cbd0
	.amdgpu_metadata
---
amdhsa.kernels:
  - .args:
      - .actual_access:  read_only
        .address_space:  global
        .offset:         0
        .size:           8
        .value_kind:     global_buffer
      - .actual_access:  read_only
        .address_space:  global
        .offset:         8
        .size:           8
        .value_kind:     global_buffer
      - .actual_access:  read_only
        .address_space:  global
        .offset:         16
        .size:           8
        .value_kind:     global_buffer
      - .actual_access:  read_only
        .address_space:  global
        .offset:         24
        .size:           8
        .value_kind:     global_buffer
      - .actual_access:  read_only
        .address_space:  global
        .offset:         32
        .size:           8
        .value_kind:     global_buffer
      - .offset:         40
        .size:           8
        .value_kind:     by_value
      - .address_space:  global
        .offset:         48
        .size:           8
        .value_kind:     global_buffer
      - .address_space:  global
        .offset:         56
        .size:           8
        .value_kind:     global_buffer
      - .address_space:  global
        .offset:         64
        .size:           8
        .value_kind:     global_buffer
      - .address_space:  global
        .offset:         72
        .size:           8
        .value_kind:     global_buffer
      - .offset:         80
        .size:           4
        .value_kind:     by_value
      - .address_space:  global
        .offset:         88
        .size:           8
        .value_kind:     global_buffer
      - .address_space:  global
        .offset:         96
        .size:           8
        .value_kind:     global_buffer
    .group_segment_fixed_size: 7344
    .kernarg_segment_align: 8
    .kernarg_segment_size: 104
    .language:       OpenCL C
    .language_version:
      - 2
      - 0
    .max_flat_workgroup_size: 102
    .name:           bluestein_single_fwd_len918_dim1_sp_op_CI_CI
    .private_segment_fixed_size: 12
    .sgpr_count:     32
    .sgpr_spill_count: 0
    .symbol:         bluestein_single_fwd_len918_dim1_sp_op_CI_CI.kd
    .uniform_work_group_size: 1
    .uses_dynamic_stack: false
    .vgpr_count:     256
    .vgpr_spill_count: 2
    .wavefront_size: 64
amdhsa.target:   amdgcn-amd-amdhsa--gfx906
amdhsa.version:
  - 1
  - 2
...

	.end_amdgpu_metadata
